;; amdgpu-corpus repo=ROCm/rocFFT kind=compiled arch=gfx950 opt=O3
	.text
	.amdgcn_target "amdgcn-amd-amdhsa--gfx950"
	.amdhsa_code_object_version 6
	.protected	fft_rtc_fwd_len480_factors_10_8_6_wgs_64_tpt_16_halfLds_dp_ip_CI_sbrr_dirReg ; -- Begin function fft_rtc_fwd_len480_factors_10_8_6_wgs_64_tpt_16_halfLds_dp_ip_CI_sbrr_dirReg
	.globl	fft_rtc_fwd_len480_factors_10_8_6_wgs_64_tpt_16_halfLds_dp_ip_CI_sbrr_dirReg
	.p2align	8
	.type	fft_rtc_fwd_len480_factors_10_8_6_wgs_64_tpt_16_halfLds_dp_ip_CI_sbrr_dirReg,@function
fft_rtc_fwd_len480_factors_10_8_6_wgs_64_tpt_16_halfLds_dp_ip_CI_sbrr_dirReg: ; @fft_rtc_fwd_len480_factors_10_8_6_wgs_64_tpt_16_halfLds_dp_ip_CI_sbrr_dirReg
; %bb.0:
	s_load_dwordx2 s[12:13], s[0:1], 0x18
	s_load_dwordx4 s[4:7], s[0:1], 0x0
	s_load_dwordx2 s[10:11], s[0:1], 0x50
	v_lshrrev_b32_e32 v66, 4, v0
	v_lshl_or_b32 v6, s2, 2, v66
	s_waitcnt lgkmcnt(0)
	s_load_dwordx2 s[8:9], s[12:13], 0x0
	v_mov_b32_e32 v4, 0
	v_cmp_lt_u64_e64 s[2:3], s[6:7], 2
	v_mov_b32_e32 v7, v4
	s_and_b64 vcc, exec, s[2:3]
	v_mov_b64_e32 v[2:3], 0
	s_cbranch_vccnz .LBB0_8
; %bb.1:
	s_load_dwordx2 s[2:3], s[0:1], 0x10
	s_add_u32 s14, s12, 8
	s_addc_u32 s15, s13, 0
	s_mov_b64 s[16:17], 1
	v_mov_b64_e32 v[2:3], 0
	s_waitcnt lgkmcnt(0)
	s_add_u32 s18, s2, 8
	s_addc_u32 s19, s3, 0
.LBB0_2:                                ; =>This Inner Loop Header: Depth=1
	s_load_dwordx2 s[20:21], s[18:19], 0x0
                                        ; implicit-def: $vgpr8_vgpr9
	s_waitcnt lgkmcnt(0)
	v_or_b32_e32 v5, s21, v7
	v_cmp_ne_u64_e32 vcc, 0, v[4:5]
	s_and_saveexec_b64 s[2:3], vcc
	s_xor_b64 s[22:23], exec, s[2:3]
	s_cbranch_execz .LBB0_4
; %bb.3:                                ;   in Loop: Header=BB0_2 Depth=1
	v_cvt_f32_u32_e32 v1, s20
	v_cvt_f32_u32_e32 v5, s21
	s_sub_u32 s2, 0, s20
	s_subb_u32 s3, 0, s21
	v_fmac_f32_e32 v1, 0x4f800000, v5
	v_rcp_f32_e32 v1, v1
	s_nop 0
	v_mul_f32_e32 v1, 0x5f7ffffc, v1
	v_mul_f32_e32 v5, 0x2f800000, v1
	v_trunc_f32_e32 v5, v5
	v_fmac_f32_e32 v1, 0xcf800000, v5
	v_cvt_u32_f32_e32 v5, v5
	v_cvt_u32_f32_e32 v1, v1
	v_mul_lo_u32 v8, s2, v5
	v_mul_hi_u32 v10, s2, v1
	v_mul_lo_u32 v9, s3, v1
	v_add_u32_e32 v10, v10, v8
	v_mul_lo_u32 v12, s2, v1
	v_add_u32_e32 v13, v10, v9
	v_mul_hi_u32 v8, v1, v12
	v_mul_hi_u32 v11, v1, v13
	v_mul_lo_u32 v10, v1, v13
	v_mov_b32_e32 v9, v4
	v_lshl_add_u64 v[8:9], v[8:9], 0, v[10:11]
	v_mul_hi_u32 v11, v5, v12
	v_mul_lo_u32 v12, v5, v12
	v_add_co_u32_e32 v8, vcc, v8, v12
	v_mul_hi_u32 v10, v5, v13
	s_nop 0
	v_addc_co_u32_e32 v8, vcc, v9, v11, vcc
	v_mov_b32_e32 v9, v4
	s_nop 0
	v_addc_co_u32_e32 v11, vcc, 0, v10, vcc
	v_mul_lo_u32 v10, v5, v13
	v_lshl_add_u64 v[8:9], v[8:9], 0, v[10:11]
	v_add_co_u32_e32 v1, vcc, v1, v8
	v_mul_lo_u32 v10, s2, v1
	s_nop 0
	v_addc_co_u32_e32 v5, vcc, v5, v9, vcc
	v_mul_lo_u32 v8, s2, v5
	v_mul_hi_u32 v9, s2, v1
	v_add_u32_e32 v8, v9, v8
	v_mul_lo_u32 v9, s3, v1
	v_add_u32_e32 v12, v8, v9
	v_mul_hi_u32 v14, v5, v10
	v_mul_lo_u32 v15, v5, v10
	v_mul_hi_u32 v9, v1, v12
	v_mul_lo_u32 v8, v1, v12
	v_mul_hi_u32 v10, v1, v10
	v_mov_b32_e32 v11, v4
	v_lshl_add_u64 v[8:9], v[10:11], 0, v[8:9]
	v_add_co_u32_e32 v8, vcc, v8, v15
	v_mul_hi_u32 v13, v5, v12
	s_nop 0
	v_addc_co_u32_e32 v8, vcc, v9, v14, vcc
	v_mul_lo_u32 v10, v5, v12
	s_nop 0
	v_addc_co_u32_e32 v11, vcc, 0, v13, vcc
	v_mov_b32_e32 v9, v4
	v_lshl_add_u64 v[8:9], v[8:9], 0, v[10:11]
	v_add_co_u32_e32 v1, vcc, v1, v8
	v_mul_hi_u32 v10, v6, v1
	s_nop 0
	v_addc_co_u32_e32 v5, vcc, v5, v9, vcc
	v_mad_u64_u32 v[8:9], s[2:3], v6, v5, 0
	v_mov_b32_e32 v11, v4
	v_lshl_add_u64 v[8:9], v[10:11], 0, v[8:9]
	v_mad_u64_u32 v[12:13], s[2:3], v7, v1, 0
	v_add_co_u32_e32 v1, vcc, v8, v12
	v_mad_u64_u32 v[10:11], s[2:3], v7, v5, 0
	s_nop 0
	v_addc_co_u32_e32 v8, vcc, v9, v13, vcc
	v_mov_b32_e32 v9, v4
	s_nop 0
	v_addc_co_u32_e32 v11, vcc, 0, v11, vcc
	v_lshl_add_u64 v[8:9], v[8:9], 0, v[10:11]
	v_mul_lo_u32 v1, s21, v8
	v_mul_lo_u32 v5, s20, v9
	v_mad_u64_u32 v[10:11], s[2:3], s20, v8, 0
	v_add3_u32 v1, v11, v5, v1
	v_sub_u32_e32 v5, v7, v1
	v_mov_b32_e32 v11, s21
	v_sub_co_u32_e32 v14, vcc, v6, v10
	v_lshl_add_u64 v[12:13], v[8:9], 0, 1
	s_nop 0
	v_subb_co_u32_e64 v5, s[2:3], v5, v11, vcc
	v_subrev_co_u32_e64 v10, s[2:3], s20, v14
	v_subb_co_u32_e32 v1, vcc, v7, v1, vcc
	s_nop 0
	v_subbrev_co_u32_e64 v5, s[2:3], 0, v5, s[2:3]
	v_cmp_le_u32_e64 s[2:3], s21, v5
	v_cmp_le_u32_e32 vcc, s21, v1
	s_nop 0
	v_cndmask_b32_e64 v11, 0, -1, s[2:3]
	v_cmp_le_u32_e64 s[2:3], s20, v10
	s_nop 1
	v_cndmask_b32_e64 v10, 0, -1, s[2:3]
	v_cmp_eq_u32_e64 s[2:3], s21, v5
	s_nop 1
	v_cndmask_b32_e64 v5, v11, v10, s[2:3]
	v_lshl_add_u64 v[10:11], v[8:9], 0, 2
	v_cmp_ne_u32_e64 s[2:3], 0, v5
	s_nop 1
	v_cndmask_b32_e64 v5, v13, v11, s[2:3]
	v_cndmask_b32_e64 v11, 0, -1, vcc
	v_cmp_le_u32_e32 vcc, s20, v14
	s_nop 1
	v_cndmask_b32_e64 v13, 0, -1, vcc
	v_cmp_eq_u32_e32 vcc, s21, v1
	s_nop 1
	v_cndmask_b32_e32 v1, v11, v13, vcc
	v_cmp_ne_u32_e32 vcc, 0, v1
	v_cndmask_b32_e64 v1, v12, v10, s[2:3]
	s_nop 0
	v_cndmask_b32_e32 v9, v9, v5, vcc
	v_cndmask_b32_e32 v8, v8, v1, vcc
.LBB0_4:                                ;   in Loop: Header=BB0_2 Depth=1
	s_andn2_saveexec_b64 s[2:3], s[22:23]
	s_cbranch_execz .LBB0_6
; %bb.5:                                ;   in Loop: Header=BB0_2 Depth=1
	v_cvt_f32_u32_e32 v1, s20
	s_sub_i32 s22, 0, s20
	v_rcp_iflag_f32_e32 v1, v1
	s_nop 0
	v_mul_f32_e32 v1, 0x4f7ffffe, v1
	v_cvt_u32_f32_e32 v1, v1
	v_mul_lo_u32 v5, s22, v1
	v_mul_hi_u32 v5, v1, v5
	v_add_u32_e32 v1, v1, v5
	v_mul_hi_u32 v1, v6, v1
	v_mul_lo_u32 v5, v1, s20
	v_sub_u32_e32 v5, v6, v5
	v_add_u32_e32 v8, 1, v1
	v_subrev_u32_e32 v9, s20, v5
	v_cmp_le_u32_e32 vcc, s20, v5
	s_nop 1
	v_cndmask_b32_e32 v5, v5, v9, vcc
	v_cndmask_b32_e32 v1, v1, v8, vcc
	v_add_u32_e32 v8, 1, v1
	v_cmp_le_u32_e32 vcc, s20, v5
	v_mov_b32_e32 v9, v4
	s_nop 0
	v_cndmask_b32_e32 v8, v1, v8, vcc
.LBB0_6:                                ;   in Loop: Header=BB0_2 Depth=1
	s_or_b64 exec, exec, s[2:3]
	v_mad_u64_u32 v[10:11], s[2:3], v8, s20, 0
	s_load_dwordx2 s[2:3], s[14:15], 0x0
	v_mul_lo_u32 v1, v9, s20
	v_mul_lo_u32 v5, v8, s21
	v_add3_u32 v1, v11, v5, v1
	v_sub_co_u32_e32 v5, vcc, v6, v10
	s_add_u32 s16, s16, 1
	s_nop 0
	v_subb_co_u32_e32 v1, vcc, v7, v1, vcc
	s_addc_u32 s17, s17, 0
	s_waitcnt lgkmcnt(0)
	v_mul_lo_u32 v1, s2, v1
	v_mul_lo_u32 v6, s3, v5
	v_mad_u64_u32 v[2:3], s[2:3], s2, v5, v[2:3]
	s_add_u32 s14, s14, 8
	v_add3_u32 v3, v6, v3, v1
	s_addc_u32 s15, s15, 0
	v_mov_b64_e32 v[6:7], s[6:7]
	s_add_u32 s18, s18, 8
	v_cmp_ge_u64_e32 vcc, s[16:17], v[6:7]
	s_addc_u32 s19, s19, 0
	s_cbranch_vccnz .LBB0_9
; %bb.7:                                ;   in Loop: Header=BB0_2 Depth=1
	v_mov_b64_e32 v[6:7], v[8:9]
	s_branch .LBB0_2
.LBB0_8:
	v_mov_b64_e32 v[8:9], v[6:7]
.LBB0_9:
	s_lshl_b64 s[2:3], s[6:7], 3
	s_add_u32 s2, s12, s2
	s_addc_u32 s3, s13, s3
	s_load_dwordx2 s[6:7], s[2:3], 0x0
	s_load_dwordx2 s[12:13], s[0:1], 0x20
	v_and_b32_e32 v202, 15, v0
	v_or_b32_e32 v206, 16, v202
	v_or_b32_e32 v205, 32, v202
	s_waitcnt lgkmcnt(0)
	v_mul_lo_u32 v1, s6, v9
	v_mul_lo_u32 v4, s7, v8
	v_mad_u64_u32 v[2:3], s[0:1], s6, v8, v[2:3]
	v_add3_u32 v3, v4, v3, v1
	v_cmp_gt_u64_e32 vcc, s[12:13], v[8:9]
	v_cmp_le_u64_e64 s[0:1], s[12:13], v[8:9]
	v_or_b32_e32 v203, 48, v202
                                        ; implicit-def: $vgpr207
                                        ; implicit-def: $vgpr208
                                        ; implicit-def: $vgpr209
	s_and_saveexec_b64 s[2:3], s[0:1]
	s_xor_b64 s[0:1], exec, s[2:3]
; %bb.10:
	v_or_b32_e32 v207, 16, v202
	v_or_b32_e32 v208, 32, v202
	;; [unrolled: 1-line block ×3, first 2 shown]
; %bb.11:
	s_or_saveexec_b64 s[0:1], s[0:1]
	v_lshl_add_u64 v[174:175], v[2:3], 4, s[10:11]
	v_or_b32_e32 v204, 64, v202
                                        ; implicit-def: $vgpr104_vgpr105
                                        ; implicit-def: $vgpr112_vgpr113
                                        ; implicit-def: $vgpr120_vgpr121
                                        ; implicit-def: $vgpr124_vgpr125
                                        ; implicit-def: $vgpr116_vgpr117
                                        ; implicit-def: $vgpr60_vgpr61
                                        ; implicit-def: $vgpr72_vgpr73
                                        ; implicit-def: $vgpr76_vgpr77
                                        ; implicit-def: $vgpr84_vgpr85
                                        ; implicit-def: $vgpr88_vgpr89
                                        ; implicit-def: $vgpr20_vgpr21
                                        ; implicit-def: $vgpr40_vgpr41
                                        ; implicit-def: $vgpr16_vgpr17
                                        ; implicit-def: $vgpr36_vgpr37
                                        ; implicit-def: $vgpr64_vgpr65
                                        ; implicit-def: $vgpr44_vgpr45
                                        ; implicit-def: $vgpr52_vgpr53
                                        ; implicit-def: $vgpr48_vgpr49
                                        ; implicit-def: $vgpr32_vgpr33
                                        ; implicit-def: $vgpr28_vgpr29
                                        ; implicit-def: $vgpr100_vgpr101
                                        ; implicit-def: $vgpr96_vgpr97
                                        ; implicit-def: $vgpr92_vgpr93
                                        ; implicit-def: $vgpr80_vgpr81
                                        ; implicit-def: $vgpr56_vgpr57
                                        ; implicit-def: $vgpr140_vgpr141
                                        ; implicit-def: $vgpr132_vgpr133
                                        ; implicit-def: $vgpr128_vgpr129
                                        ; implicit-def: $vgpr136_vgpr137
                                        ; implicit-def: $vgpr108_vgpr109
	s_xor_b64 exec, exec, s[0:1]
	s_cbranch_execz .LBB0_13
; %bb.12:
	v_mad_u64_u32 v[0:1], s[2:3], s8, v202, 0
	v_mov_b32_e32 v2, v1
	v_mad_u64_u32 v[2:3], s[2:3], s9, v202, v[2:3]
	v_mov_b32_e32 v1, v2
	;; [unrolled: 2-line block ×3, first 2 shown]
	v_mad_u64_u32 v[4:5], s[2:3], s9, v203, v[4:5]
	v_or_b32_e32 v7, 0x60, v202
	v_mov_b32_e32 v3, v4
	v_mad_u64_u32 v[4:5], s[2:3], s8, v7, 0
	v_mov_b32_e32 v6, v5
	v_mad_u64_u32 v[6:7], s[2:3], s9, v7, v[6:7]
	v_or_b32_e32 v9, 0x90, v202
	v_mov_b32_e32 v5, v6
	v_mad_u64_u32 v[6:7], s[2:3], s8, v9, 0
	v_mov_b32_e32 v8, v7
	;; [unrolled: 5-line block ×8, first 2 shown]
	v_mad_u64_u32 v[20:21], s[2:3], s9, v21, v[20:21]
	v_mov_b32_e32 v19, v20
	v_mad_u64_u32 v[20:21], s[2:3], s8, v206, 0
	v_mov_b32_e32 v22, v21
	;; [unrolled: 2-line block ×4, first 2 shown]
	v_mad_u64_u32 v[24:25], s[2:3], s9, v204, v[24:25]
	v_or_b32_e32 v27, 0x70, v202
	v_mov_b32_e32 v23, v24
	v_mad_u64_u32 v[24:25], s[2:3], s8, v27, 0
	v_mov_b32_e32 v26, v25
	v_mad_u64_u32 v[26:27], s[2:3], s9, v27, v[26:27]
	v_or_b32_e32 v29, 0xa0, v202
	v_mov_b32_e32 v25, v26
	v_mad_u64_u32 v[26:27], s[2:3], s8, v29, 0
	v_mov_b32_e32 v28, v27
	;; [unrolled: 5-line block ×8, first 2 shown]
	v_mad_u64_u32 v[40:41], s[2:3], s9, v41, v[40:41]
	v_mov_b32_e32 v39, v40
	v_mad_u64_u32 v[40:41], s[2:3], s8, v205, 0
	v_mov_b32_e32 v42, v41
	v_mad_u64_u32 v[42:43], s[2:3], s9, v205, v[42:43]
	v_or_b32_e32 v45, 0x50, v202
	v_mov_b32_e32 v41, v42
	v_mad_u64_u32 v[42:43], s[2:3], s8, v45, 0
	v_mov_b32_e32 v44, v43
	v_mad_u64_u32 v[44:45], s[2:3], s9, v45, v[44:45]
	v_or_b32_e32 v47, 0x80, v202
	;; [unrolled: 5-line block ×9, first 2 shown]
	v_mov_b32_e32 v57, v58
	v_mad_u64_u32 v[58:59], s[2:3], s8, v61, 0
	v_mov_b32_e32 v60, v59
	v_mad_u64_u32 v[60:61], s[2:3], s9, v61, v[60:61]
	v_mov_b32_e32 v59, v60
	v_lshl_add_u64 v[0:1], v[0:1], 4, v[174:175]
	v_lshl_add_u64 v[14:15], v[14:15], 4, v[174:175]
	;; [unrolled: 1-line block ×30, first 2 shown]
	global_load_dwordx4 v[106:109], v[0:1], off
	global_load_dwordx4 v[102:105], v[2:3], off
	;; [unrolled: 1-line block ×15, first 2 shown]
                                        ; kill: killed $vgpr20_vgpr21
                                        ; kill: killed $vgpr16_vgpr17
                                        ; kill: killed $vgpr2_vgpr3
                                        ; kill: killed $vgpr26_vgpr27
                                        ; kill: killed $vgpr8_vgpr9
                                        ; kill: killed $vgpr14_vgpr15
                                        ; kill: killed $vgpr24_vgpr25
                                        ; kill: killed $vgpr6_vgpr7
                                        ; kill: killed $vgpr12_vgpr13
                                        ; kill: killed $vgpr22_vgpr23
                                        ; kill: killed $vgpr18_vgpr19
                                        ; kill: killed $vgpr28_vgpr29
                                        ; kill: killed $vgpr4_vgpr5
                                        ; kill: killed $vgpr0_vgpr1
                                        ; kill: killed $vgpr10_vgpr11
	global_load_dwordx4 v[90:93], v[30:31], off
	global_load_dwordx4 v[94:97], v[32:33], off
	;; [unrolled: 1-line block ×7, first 2 shown]
                                        ; kill: killed $vgpr32_vgpr33
                                        ; kill: killed $vgpr42_vgpr43
                                        ; kill: killed $vgpr38_vgpr39
                                        ; kill: killed $vgpr30_vgpr31
                                        ; kill: killed $vgpr40_vgpr41
                                        ; kill: killed $vgpr36_vgpr37
                                        ; kill: killed $vgpr34_vgpr35
	s_nop 0
	global_load_dwordx4 v[38:41], v[44:45], off
	global_load_dwordx4 v[30:33], v[62:63], off
	;; [unrolled: 1-line block ×4, first 2 shown]
                                        ; kill: killed $vgpr44_vgpr45
                                        ; kill: killed $vgpr50_vgpr51
                                        ; kill: killed $vgpr64_vgpr65
                                        ; kill: killed $vgpr62_vgpr63
	s_nop 0
	global_load_dwordx4 v[50:53], v[68:69], off
	global_load_dwordx4 v[34:37], v[142:143], off
                                        ; kill: killed $vgpr142_vgpr143
                                        ; kill: killed $vgpr68_vgpr69
	global_load_dwordx4 v[62:65], v[144:145], off
	global_load_dwordx4 v[42:45], v[146:147], off
	v_mov_b32_e32 v209, v203
	v_mov_b32_e32 v208, v205
	;; [unrolled: 1-line block ×3, first 2 shown]
.LBB0_13:
	s_or_b64 exec, exec, s[0:1]
	s_waitcnt vmcnt(27)
	v_add_f64 v[0:1], v[134:135], v[106:107]
	s_waitcnt vmcnt(25)
	v_add_f64 v[0:1], v[118:119], v[0:1]
	s_waitcnt vmcnt(23)
	v_add_f64 v[0:1], v[122:123], v[0:1]
	s_waitcnt vmcnt(21)
	v_add_f64 v[4:5], v[138:139], v[0:1]
	v_add_f64 v[0:1], v[118:119], v[122:123]
	s_mov_b32 s14, 0x134454ff
	v_fma_f64 v[6:7], -0.5, v[0:1], v[106:107]
	v_add_f64 v[0:1], v[136:137], -v[140:141]
	s_mov_b32 s15, 0x3fee6f0e
	s_mov_b32 s12, 0x4755a5e
	s_mov_b32 s7, 0xbfee6f0e
	s_mov_b32 s6, s14
	v_fma_f64 v[8:9], s[14:15], v[0:1], v[6:7]
	v_add_f64 v[2:3], v[120:121], -v[124:125]
	s_mov_b32 s13, 0x3fe2cf23
	v_add_f64 v[10:11], v[134:135], -v[118:119]
	v_add_f64 v[12:13], v[138:139], -v[122:123]
	s_mov_b32 s2, 0x372fe950
	v_fmac_f64_e32 v[6:7], s[6:7], v[0:1]
	s_mov_b32 s11, 0xbfe2cf23
	s_mov_b32 s10, s12
	v_fmac_f64_e32 v[8:9], s[12:13], v[2:3]
	v_add_f64 v[10:11], v[12:13], v[10:11]
	s_mov_b32 s3, 0x3fd3c6ef
	v_fmac_f64_e32 v[6:7], s[10:11], v[2:3]
	v_fmac_f64_e32 v[8:9], s[2:3], v[10:11]
	v_fmac_f64_e32 v[6:7], s[2:3], v[10:11]
	v_add_f64 v[10:11], v[138:139], v[134:135]
	v_fmac_f64_e32 v[106:107], -0.5, v[10:11]
	v_fma_f64 v[10:11], s[6:7], v[2:3], v[106:107]
	v_fmac_f64_e32 v[106:107], s[14:15], v[2:3]
	v_fmac_f64_e32 v[10:11], s[12:13], v[0:1]
	;; [unrolled: 1-line block ×3, first 2 shown]
	v_add_f64 v[0:1], v[102:103], v[110:111]
	v_add_f64 v[12:13], v[118:119], -v[134:135]
	v_add_f64 v[22:23], v[122:123], -v[138:139]
	v_add_f64 v[0:1], v[0:1], v[126:127]
	v_add_f64 v[12:13], v[22:23], v[12:13]
	;; [unrolled: 1-line block ×3, first 2 shown]
	v_fmac_f64_e32 v[10:11], s[2:3], v[12:13]
	v_fmac_f64_e32 v[106:107], s[2:3], v[12:13]
	s_waitcnt vmcnt(20)
	v_add_f64 v[12:13], v[114:115], v[0:1]
	v_add_f64 v[0:1], v[130:131], v[126:127]
	v_fma_f64 v[176:177], -0.5, v[0:1], v[102:103]
	v_add_f64 v[0:1], v[112:113], -v[116:117]
	v_fma_f64 v[178:179], s[14:15], v[0:1], v[176:177]
	v_add_f64 v[2:3], v[128:129], -v[132:133]
	v_add_f64 v[22:23], v[110:111], -v[126:127]
	;; [unrolled: 1-line block ×3, first 2 shown]
	v_fmac_f64_e32 v[176:177], s[6:7], v[0:1]
	v_fmac_f64_e32 v[178:179], s[12:13], v[2:3]
	v_add_f64 v[22:23], v[24:25], v[22:23]
	v_fmac_f64_e32 v[176:177], s[10:11], v[2:3]
	v_fmac_f64_e32 v[178:179], s[2:3], v[22:23]
	;; [unrolled: 1-line block ×3, first 2 shown]
	v_add_f64 v[22:23], v[110:111], v[114:115]
	v_fmac_f64_e32 v[102:103], -0.5, v[22:23]
	v_fma_f64 v[180:181], s[6:7], v[2:3], v[102:103]
	v_fmac_f64_e32 v[102:103], s[14:15], v[2:3]
	v_fmac_f64_e32 v[180:181], s[12:13], v[0:1]
	v_add_f64 v[22:23], v[126:127], -v[110:111]
	v_add_f64 v[24:25], v[130:131], -v[114:115]
	v_fmac_f64_e32 v[102:103], s[10:11], v[0:1]
	v_add_f64 v[0:1], v[132:133], v[128:129]
	v_add_f64 v[22:23], v[24:25], v[22:23]
	v_fma_f64 v[182:183], -0.5, v[0:1], v[104:105]
	v_add_f64 v[0:1], v[110:111], -v[114:115]
	v_fmac_f64_e32 v[180:181], s[2:3], v[22:23]
	v_fmac_f64_e32 v[102:103], s[2:3], v[22:23]
	v_fma_f64 v[114:115], s[6:7], v[0:1], v[182:183]
	v_add_f64 v[2:3], v[126:127], -v[130:131]
	v_add_f64 v[22:23], v[112:113], -v[128:129]
	;; [unrolled: 1-line block ×3, first 2 shown]
	v_fmac_f64_e32 v[182:183], s[14:15], v[0:1]
	v_fmac_f64_e32 v[114:115], s[10:11], v[2:3]
	v_add_f64 v[22:23], v[24:25], v[22:23]
	v_fmac_f64_e32 v[182:183], s[12:13], v[2:3]
	v_fmac_f64_e32 v[114:115], s[2:3], v[22:23]
	;; [unrolled: 1-line block ×3, first 2 shown]
	v_add_f64 v[22:23], v[112:113], v[116:117]
	v_fma_f64 v[130:131], -0.5, v[22:23], v[104:105]
	v_fma_f64 v[184:185], s[14:15], v[2:3], v[130:131]
	v_add_f64 v[22:23], v[128:129], -v[112:113]
	v_add_f64 v[24:25], v[132:133], -v[116:117]
	v_fmac_f64_e32 v[130:131], s[6:7], v[2:3]
	s_mov_b32 s16, 0x9b97f4a8
	v_mul_u32_u24_e32 v66, 0x1e0, v66
	v_fmac_f64_e32 v[184:185], s[10:11], v[0:1]
	v_add_f64 v[22:23], v[24:25], v[22:23]
	v_fmac_f64_e32 v[130:131], s[12:13], v[0:1]
	s_mov_b32 s17, 0x3fe9e377
	v_fmac_f64_e32 v[184:185], s[2:3], v[22:23]
	v_fmac_f64_e32 v[130:131], s[2:3], v[22:23]
	v_mul_f64 v[22:23], v[178:179], s[16:17]
	v_lshlrev_b32_e32 v214, 3, v66
	v_fmac_f64_e32 v[22:23], s[12:13], v[114:115]
	v_mul_u32_u24_e32 v24, 10, v202
	v_add_u32_e32 v148, 0, v214
	v_add_f64 v[0:1], v[12:13], v[4:5]
	v_add_f64 v[2:3], v[8:9], v[22:23]
	v_lshl_add_u32 v216, v24, 3, v148
	v_mul_f64 v[24:25], v[184:185], s[14:15]
	ds_write_b128 v216, v[0:3]
	v_fmac_f64_e32 v[24:25], s[2:3], v[180:181]
	v_add_f64 v[0:1], v[8:9], -v[22:23]
	v_mul_f64 v[22:23], v[176:177], s[16:17]
	v_add_f64 v[2:3], v[10:11], -v[24:25]
	v_fma_f64 v[68:69], v[182:183], s[12:13], -v[22:23]
	v_add_f64 v[8:9], v[24:25], v[10:11]
	v_add_f64 v[24:25], v[4:5], -v[12:13]
	v_add_f64 v[22:23], v[6:7], v[68:69]
	ds_write_b128 v216, v[0:3] offset:48
	s_waitcnt vmcnt(14)
	v_add_f64 v[0:1], v[78:79], -v[90:91]
	s_waitcnt vmcnt(10)
	v_add_f64 v[2:3], v[86:87], -v[82:83]
	ds_write_b128 v216, v[22:25] offset:32
	v_add_f64 v[24:25], v[2:3], v[0:1]
	v_add_f64 v[0:1], v[80:81], -v[92:93]
	v_add_f64 v[2:3], v[88:89], -v[84:85]
	;; [unrolled: 1-line block ×3, first 2 shown]
	v_add_f64 v[68:69], v[2:3], v[0:1]
	v_add_f64 v[0:1], v[58:59], v[78:79]
	;; [unrolled: 1-line block ×4, first 2 shown]
	v_mul_f64 v[10:11], v[102:103], s[2:3]
	v_add_f64 v[110:111], v[86:87], v[0:1]
	v_add_f64 v[0:1], v[82:83], v[90:91]
	v_fma_f64 v[66:67], v[130:131], s[14:15], -v[10:11]
	v_fma_f64 v[186:187], -0.5, v[0:1], v[58:59]
	v_add_f64 v[0:1], v[84:85], v[92:93]
	v_add_f64 v[10:11], v[66:67], v[106:107]
	v_fma_f64 v[188:189], -0.5, v[0:1], v[60:61]
	v_add_f64 v[144:145], v[78:79], -v[86:87]
	ds_write_b128 v216, v[8:11] offset:16
	v_add_f64 v[10:11], v[74:75], v[94:95]
	v_add_f64 v[12:13], v[70:71], -v[74:75]
	v_add_f64 v[22:23], v[98:99], -v[94:95]
	;; [unrolled: 1-line block ×3, first 2 shown]
	v_fma_f64 v[192:193], s[6:7], v[144:145], v[188:189]
	v_add_f64 v[146:147], v[90:91], -v[82:83]
	v_add_f64 v[8:9], v[70:71], v[54:55]
	v_fma_f64 v[10:11], -0.5, v[10:11], v[54:55]
	v_add_f64 v[12:13], v[12:13], v[22:23]
	v_add_f64 v[22:23], v[72:73], -v[100:101]
	v_fma_f64 v[190:191], s[14:15], v[126:127], v[186:187]
	v_add_f64 v[142:143], v[92:93], -v[84:85]
	v_fmac_f64_e32 v[192:193], s[10:11], v[146:147]
	v_add_f64 v[4:5], v[106:107], -v[66:67]
	v_add_f64 v[8:9], v[74:75], v[8:9]
	v_fma_f64 v[66:67], s[14:15], v[22:23], v[10:11]
	v_add_f64 v[106:107], v[76:77], -v[96:97]
	v_fmac_f64_e32 v[190:191], s[12:13], v[142:143]
	v_fmac_f64_e32 v[192:193], s[2:3], v[68:69]
	v_add_f64 v[8:9], v[94:95], v[8:9]
	ds_write_b128 v216, v[4:7] offset:64
	v_fmac_f64_e32 v[66:67], s[12:13], v[106:107]
	v_fmac_f64_e32 v[190:191], s[2:3], v[24:25]
	v_mul_f64 v[4:5], v[192:193], s[12:13]
	v_add_f64 v[8:9], v[98:99], v[8:9]
	v_fmac_f64_e32 v[66:67], s[2:3], v[12:13]
	v_fmac_f64_e32 v[4:5], s[16:17], v[190:191]
	v_mul_i32_i24_e32 v6, 10, v207
	v_add_f64 v[0:1], v[110:111], v[8:9]
	v_add_f64 v[2:3], v[66:67], v[4:5]
	v_lshl_add_u32 v217, v6, 3, v148
	ds_write_b128 v217, v[0:3]
	v_add_f64 v[0:1], v[70:71], v[98:99]
	v_fmac_f64_e32 v[54:55], -0.5, v[0:1]
	v_add_f64 v[0:1], v[74:75], -v[70:71]
	v_add_f64 v[2:3], v[94:95], -v[98:99]
	v_fma_f64 v[6:7], s[6:7], v[106:107], v[54:55]
	v_fmac_f64_e32 v[54:55], s[14:15], v[106:107]
	v_add_f64 v[0:1], v[0:1], v[2:3]
	v_fmac_f64_e32 v[6:7], s[12:13], v[22:23]
	v_fmac_f64_e32 v[54:55], s[10:11], v[22:23]
	;; [unrolled: 1-line block ×4, first 2 shown]
	v_add_f64 v[0:1], v[86:87], v[78:79]
	v_fmac_f64_e32 v[58:59], -0.5, v[0:1]
	v_add_f64 v[0:1], v[90:91], -v[78:79]
	v_add_f64 v[2:3], v[82:83], -v[86:87]
	v_fma_f64 v[78:79], s[6:7], v[142:143], v[58:59]
	v_fmac_f64_e32 v[58:59], s[14:15], v[142:143]
	v_add_f64 v[0:1], v[2:3], v[0:1]
	v_fmac_f64_e32 v[78:79], s[12:13], v[126:127]
	v_fmac_f64_e32 v[58:59], s[10:11], v[126:127]
	;; [unrolled: 1-line block ×4, first 2 shown]
	v_add_f64 v[0:1], v[92:93], -v[80:81]
	v_add_f64 v[2:3], v[84:85], -v[88:89]
	v_add_f64 v[0:1], v[2:3], v[0:1]
	v_add_f64 v[2:3], v[88:89], v[80:81]
	v_fma_f64 v[82:83], -0.5, v[2:3], v[60:61]
	v_fma_f64 v[196:197], s[14:15], v[146:147], v[82:83]
	v_fmac_f64_e32 v[196:197], s[10:11], v[144:145]
	v_fmac_f64_e32 v[196:197], s[2:3], v[0:1]
	;; [unrolled: 1-line block ×3, first 2 shown]
	v_mul_f64 v[86:87], v[78:79], s[2:3]
	v_fmac_f64_e32 v[82:83], s[12:13], v[144:145]
	v_fmac_f64_e32 v[86:87], s[14:15], v[196:197]
	;; [unrolled: 1-line block ×3, first 2 shown]
	v_add_f64 v[0:1], v[66:67], -v[4:5]
	v_add_f64 v[2:3], v[6:7], -v[86:87]
	v_add_f64 v[4:5], v[6:7], v[86:87]
	v_mul_f64 v[6:7], v[58:59], s[2:3]
	v_fmac_f64_e32 v[186:187], s[6:7], v[126:127]
	v_fma_f64 v[66:67], v[82:83], s[14:15], -v[6:7]
	v_fmac_f64_e32 v[186:187], s[10:11], v[142:143]
	v_fmac_f64_e32 v[188:189], s[14:15], v[144:145]
	v_add_f64 v[6:7], v[54:55], v[66:67]
	v_fmac_f64_e32 v[10:11], s[6:7], v[22:23]
	v_fmac_f64_e32 v[186:187], s[2:3], v[24:25]
	;; [unrolled: 1-line block ×3, first 2 shown]
	ds_write_b128 v217, v[4:7] offset:16
	v_fmac_f64_e32 v[10:11], s[10:11], v[106:107]
	v_fmac_f64_e32 v[188:189], s[2:3], v[68:69]
	v_mul_f64 v[4:5], v[186:187], s[16:17]
	v_fmac_f64_e32 v[10:11], s[2:3], v[12:13]
	v_fma_f64 v[12:13], v[188:189], s[12:13], -v[4:5]
	v_add_f64 v[6:7], v[8:9], -v[110:111]
	v_add_f64 v[4:5], v[10:11], v[12:13]
	ds_write_b128 v217, v[4:7] offset:32
	ds_write_b128 v217, v[0:3] offset:48
	v_add_f64 v[2:3], v[10:11], -v[12:13]
	v_add_f64 v[0:1], v[54:55], -v[66:67]
	ds_write_b128 v217, v[0:3] offset:64
	s_waitcnt vmcnt(5)
	v_add_f64 v[0:1], v[38:39], -v[46:47]
	s_waitcnt vmcnt(1)
	v_add_f64 v[2:3], v[62:63], -v[50:51]
	v_add_f64 v[4:5], v[2:3], v[0:1]
	v_add_f64 v[0:1], v[30:31], -v[14:15]
	s_waitcnt vmcnt(0)
	v_add_f64 v[2:3], v[42:43], -v[34:35]
	v_add_f64 v[6:7], v[2:3], v[0:1]
	v_add_f64 v[0:1], v[32:33], -v[16:17]
	v_add_f64 v[2:3], v[44:45], -v[36:37]
	v_add_f64 v[8:9], v[2:3], v[0:1]
	v_add_f64 v[0:1], v[18:19], v[38:39]
	v_add_f64 v[0:1], v[0:1], v[46:47]
	v_add_f64 v[0:1], v[50:51], v[0:1]
	v_add_f64 v[10:11], v[62:63], v[0:1]
	v_add_f64 v[0:1], v[50:51], v[46:47]
	v_fma_f64 v[12:13], -0.5, v[0:1], v[18:19]
	v_add_f64 v[0:1], v[30:31], v[26:27]
	v_add_f64 v[0:1], v[14:15], v[0:1]
	;; [unrolled: 1-line block ×5, first 2 shown]
	v_fma_f64 v[54:55], -0.5, v[0:1], v[26:27]
	v_add_f64 v[106:107], v[32:33], -v[44:45]
	v_add_f64 v[0:1], v[16:17], v[36:37]
	v_fma_f64 v[198:199], s[14:15], v[106:107], v[54:55]
	v_add_f64 v[110:111], v[16:17], -v[36:37]
	v_fma_f64 v[194:195], -0.5, v[0:1], v[28:29]
	v_add_f64 v[126:127], v[30:31], -v[42:43]
	v_add_f64 v[22:23], v[40:41], -v[64:65]
	v_fmac_f64_e32 v[198:199], s[12:13], v[110:111]
	v_fma_f64 v[200:201], s[6:7], v[126:127], v[194:195]
	v_add_f64 v[142:143], v[14:15], -v[34:35]
	v_fma_f64 v[24:25], s[14:15], v[22:23], v[12:13]
	v_add_f64 v[86:87], v[48:49], -v[52:53]
	v_fmac_f64_e32 v[198:199], s[2:3], v[6:7]
	v_fmac_f64_e32 v[200:201], s[10:11], v[142:143]
	;; [unrolled: 1-line block ×4, first 2 shown]
	v_mul_f64 v[66:67], v[198:199], s[16:17]
	v_fmac_f64_e32 v[24:25], s[2:3], v[4:5]
	v_fmac_f64_e32 v[66:67], s[12:13], v[200:201]
	v_mul_i32_i24_e32 v68, 10, v208
	v_add_f64 v[0:1], v[10:11], v[90:91]
	v_add_f64 v[2:3], v[24:25], v[66:67]
	v_lshl_add_u32 v218, v68, 3, v148
	ds_write_b128 v218, v[0:3]
	v_add_f64 v[0:1], v[38:39], v[62:63]
	v_fmac_f64_e32 v[18:19], -0.5, v[0:1]
	v_add_f64 v[0:1], v[46:47], -v[38:39]
	v_add_f64 v[2:3], v[50:51], -v[62:63]
	v_add_f64 v[0:1], v[2:3], v[0:1]
	v_fma_f64 v[2:3], s[6:7], v[86:87], v[18:19]
	v_fmac_f64_e32 v[18:19], s[14:15], v[86:87]
	v_fmac_f64_e32 v[2:3], s[12:13], v[22:23]
	v_fmac_f64_e32 v[18:19], s[10:11], v[22:23]
	v_fmac_f64_e32 v[2:3], s[2:3], v[0:1]
	v_fmac_f64_e32 v[18:19], s[2:3], v[0:1]
	v_add_f64 v[0:1], v[42:43], v[30:31]
	v_fmac_f64_e32 v[26:27], -0.5, v[0:1]
	v_add_f64 v[0:1], v[14:15], -v[30:31]
	v_add_f64 v[14:15], v[34:35], -v[42:43]
	v_fma_f64 v[30:31], s[6:7], v[110:111], v[26:27]
	v_fmac_f64_e32 v[26:27], s[14:15], v[110:111]
	v_add_f64 v[0:1], v[14:15], v[0:1]
	v_fmac_f64_e32 v[30:31], s[12:13], v[106:107]
	v_fmac_f64_e32 v[26:27], s[10:11], v[106:107]
	;; [unrolled: 1-line block ×4, first 2 shown]
	v_add_f64 v[0:1], v[16:17], -v[32:33]
	v_add_f64 v[14:15], v[36:37], -v[44:45]
	v_add_f64 v[0:1], v[14:15], v[0:1]
	v_add_f64 v[14:15], v[44:45], v[32:33]
	v_fma_f64 v[34:35], -0.5, v[14:15], v[28:29]
	v_fma_f64 v[42:43], s[14:15], v[142:143], v[34:35]
	v_fmac_f64_e32 v[34:35], s[6:7], v[142:143]
	v_fmac_f64_e32 v[42:43], s[10:11], v[126:127]
	;; [unrolled: 1-line block ×5, first 2 shown]
	v_mul_f64 v[0:1], v[30:31], s[2:3]
	v_fmac_f64_e32 v[0:1], s[14:15], v[42:43]
	v_add_f64 v[68:69], v[2:3], -v[0:1]
	v_add_f64 v[0:1], v[2:3], v[0:1]
	v_mul_f64 v[2:3], v[26:27], s[2:3]
	v_fmac_f64_e32 v[54:55], s[6:7], v[106:107]
	v_fma_f64 v[14:15], v[34:35], s[14:15], -v[2:3]
	v_fmac_f64_e32 v[54:55], s[10:11], v[110:111]
	v_fmac_f64_e32 v[194:195], s[14:15], v[126:127]
	v_add_f64 v[2:3], v[18:19], v[14:15]
	v_fmac_f64_e32 v[12:13], s[6:7], v[22:23]
	v_fmac_f64_e32 v[54:55], s[2:3], v[6:7]
	;; [unrolled: 1-line block ×3, first 2 shown]
	ds_write_b128 v218, v[0:3] offset:16
	v_fmac_f64_e32 v[12:13], s[10:11], v[86:87]
	v_fmac_f64_e32 v[194:195], s[2:3], v[8:9]
	v_mul_f64 v[0:1], v[54:55], s[16:17]
	v_fmac_f64_e32 v[12:13], s[2:3], v[4:5]
	v_fma_f64 v[0:1], v[194:195], s[12:13], -v[0:1]
	v_lshlrev_b32_e32 v8, 3, v202
	v_add_f64 v[6:7], v[10:11], -v[90:91]
	v_add_f64 v[4:5], v[12:13], v[0:1]
	v_add_u32_e32 v210, v148, v8
	v_add3_u32 v211, 0, v8, v214
	v_add_f64 v[66:67], v[24:25], -v[66:67]
	v_add_f64 v[2:3], v[12:13], -v[0:1]
	;; [unrolled: 1-line block ×3, first 2 shown]
	ds_write_b128 v218, v[4:7] offset:32
	ds_write_b128 v218, v[66:69] offset:48
	;; [unrolled: 1-line block ×3, first 2 shown]
	s_waitcnt lgkmcnt(0)
	; wave barrier
	s_waitcnt lgkmcnt(0)
	v_lshl_add_u32 v212, v207, 3, v148
	v_lshl_add_u32 v213, v208, 3, v148
	v_add_u32_e32 v219, 0x800, v211
	ds_read_b64 v[106:107], v210
	ds_read_b64 v[86:87], v213
	;; [unrolled: 1-line block ×3, first 2 shown]
	ds_read_b64 v[126:127], v211 offset:3616
	ds_read2_b64 v[170:173], v211 offset0:60 offset1:76
	ds_read2_b64 v[150:153], v211 offset0:92 offset1:120
	;; [unrolled: 1-line block ×8, first 2 shown]
	ds_read2_b64 v[8:11], v219 offset1:16
	ds_read2_b64 v[146:149], v219 offset0:120 offset1:136
	v_cmp_gt_u32_e64 s[0:1], 12, v202
	v_lshlrev_b32_e32 v215, 3, v209
                                        ; implicit-def: $vgpr110_vgpr111
                                        ; implicit-def: $vgpr24_vgpr25
	s_and_saveexec_b64 s[18:19], s[0:1]
	s_cbranch_execz .LBB0_15
; %bb.14:
	ds_read2_b64 v[220:223], v211 offset0:108 offset1:168
	v_add3_u32 v4, 0, v215, v214
	v_add_u32_e32 v0, 0x400, v211
	ds_read2_b64 v[0:3], v0 offset0:100 offset1:160
	ds_read2_b64 v[22:25], v219 offset0:92 offset1:152
	ds_read_b64 v[4:5], v4
	ds_read_b64 v[110:111], v211 offset:3744
	s_waitcnt lgkmcnt(3)
	v_mov_b64_e32 v[68:69], v[0:1]
	v_mov_b64_e32 v[6:7], v[220:221]
	;; [unrolled: 1-line block ×3, first 2 shown]
	s_waitcnt lgkmcnt(2)
	v_mov_b64_e32 v[2:3], v[22:23]
	v_mov_b64_e32 v[66:67], v[222:223]
.LBB0_15:
	s_or_b64 exec, exec, s[18:19]
	v_add_f64 v[22:23], v[120:121], v[124:125]
	v_fma_f64 v[22:23], -0.5, v[22:23], v[108:109]
	v_add_f64 v[134:135], v[134:135], -v[138:139]
	v_fma_f64 v[138:139], s[6:7], v[134:135], v[22:23]
	v_add_f64 v[118:119], v[118:119], -v[122:123]
	v_add_f64 v[122:123], v[136:137], -v[120:121]
	;; [unrolled: 1-line block ×3, first 2 shown]
	v_fmac_f64_e32 v[22:23], s[14:15], v[134:135]
	v_fmac_f64_e32 v[138:139], s[10:11], v[118:119]
	v_add_f64 v[122:123], v[220:221], v[122:123]
	v_fmac_f64_e32 v[22:23], s[12:13], v[118:119]
	v_fmac_f64_e32 v[138:139], s[2:3], v[122:123]
	;; [unrolled: 1-line block ×3, first 2 shown]
	v_add_f64 v[122:123], v[140:141], v[136:137]
	v_add_f64 v[18:19], v[136:137], v[108:109]
	v_fmac_f64_e32 v[108:109], -0.5, v[122:123]
	v_fma_f64 v[122:123], s[14:15], v[118:119], v[108:109]
	v_fmac_f64_e32 v[108:109], s[6:7], v[118:119]
	v_add_f64 v[104:105], v[104:105], v[112:113]
	v_mul_f64 v[118:119], v[130:131], s[2:3]
	v_add_f64 v[18:19], v[120:121], v[18:19]
	v_add_f64 v[104:105], v[104:105], v[128:129]
	v_fma_f64 v[128:129], v[102:103], s[6:7], -v[118:119]
	v_mul_f64 v[102:103], v[182:183], s[16:17]
	v_add_f64 v[18:19], v[124:125], v[18:19]
	v_add_f64 v[120:121], v[120:121], -v[136:137]
	v_add_f64 v[124:125], v[124:125], -v[140:141]
	v_fma_f64 v[130:131], v[176:177], s[10:11], -v[102:103]
	v_add_f64 v[120:121], v[124:125], v[120:121]
	v_fmac_f64_e32 v[108:109], s[12:13], v[134:135]
	v_add_f64 v[102:103], v[22:23], v[130:131]
	v_add_f64 v[130:131], v[22:23], -v[130:131]
	v_add_f64 v[22:23], v[76:77], v[96:97]
	v_fmac_f64_e32 v[108:109], s[2:3], v[120:121]
	v_fma_f64 v[22:23], -0.5, v[22:23], v[56:57]
	v_add_f64 v[70:71], v[70:71], -v[98:99]
	v_add_f64 v[104:105], v[132:133], v[104:105]
	v_add_f64 v[118:119], v[108:109], v[128:129]
	v_add_f64 v[128:129], v[108:109], -v[128:129]
	v_fma_f64 v[98:99], s[6:7], v[70:71], v[22:23]
	v_add_f64 v[74:75], v[74:75], -v[94:95]
	v_add_f64 v[94:95], v[72:73], -v[76:77]
	;; [unrolled: 1-line block ×3, first 2 shown]
	v_fmac_f64_e32 v[22:23], s[14:15], v[70:71]
	v_add_f64 v[18:19], v[140:141], v[18:19]
	v_add_f64 v[104:105], v[116:117], v[104:105]
	v_fmac_f64_e32 v[98:99], s[10:11], v[74:75]
	v_add_f64 v[94:95], v[94:95], v[108:109]
	v_fmac_f64_e32 v[22:23], s[12:13], v[74:75]
	v_add_f64 v[112:113], v[104:105], v[18:19]
	v_add_f64 v[104:105], v[18:19], -v[104:105]
	v_add_f64 v[18:19], v[72:73], v[56:57]
	v_fmac_f64_e32 v[98:99], s[2:3], v[94:95]
	v_fmac_f64_e32 v[22:23], s[2:3], v[94:95]
	v_add_f64 v[94:95], v[72:73], v[100:101]
	v_add_f64 v[18:19], v[76:77], v[18:19]
	v_fmac_f64_e32 v[56:57], -0.5, v[94:95]
	v_add_f64 v[72:73], v[76:77], -v[72:73]
	v_add_f64 v[76:77], v[96:97], -v[100:101]
	v_add_f64 v[60:61], v[60:61], v[80:81]
	v_fma_f64 v[94:95], s[14:15], v[74:75], v[56:57]
	v_add_f64 v[72:73], v[72:73], v[76:77]
	v_add_f64 v[60:61], v[92:93], v[60:61]
	v_mul_f64 v[76:77], v[82:83], s[2:3]
	v_fmac_f64_e32 v[94:95], s[10:11], v[70:71]
	v_fmac_f64_e32 v[56:57], s[6:7], v[74:75]
	v_add_f64 v[60:61], v[84:85], v[60:61]
	v_mul_f64 v[80:81], v[190:191], s[10:11]
	v_mul_f64 v[84:85], v[78:79], s[6:7]
	v_fma_f64 v[82:83], v[58:59], s[6:7], -v[76:77]
	v_mul_f64 v[58:59], v[188:189], s[16:17]
	v_fmac_f64_e32 v[94:95], s[2:3], v[72:73]
	v_fmac_f64_e32 v[56:57], s[12:13], v[70:71]
	v_add_f64 v[60:61], v[88:89], v[60:61]
	v_fmac_f64_e32 v[80:81], s[16:17], v[192:193]
	v_fmac_f64_e32 v[84:85], s[2:3], v[196:197]
	v_fma_f64 v[88:89], v[186:187], s[10:11], -v[58:59]
	v_fmac_f64_e32 v[56:57], s[2:3], v[72:73]
	v_add_f64 v[72:73], v[98:99], v[80:81]
	v_add_f64 v[74:75], v[94:95], v[84:85]
	;; [unrolled: 1-line block ×3, first 2 shown]
	v_add_f64 v[78:79], v[98:99], -v[80:81]
	v_add_f64 v[80:81], v[94:95], -v[84:85]
	;; [unrolled: 1-line block ×3, first 2 shown]
	v_add_f64 v[22:23], v[52:53], v[48:49]
	v_fma_f64 v[22:23], -0.5, v[22:23], v[20:21]
	v_add_f64 v[38:39], v[38:39], -v[62:63]
	v_add_f64 v[76:77], v[56:57], v[82:83]
	v_add_f64 v[82:83], v[56:57], -v[82:83]
	v_fma_f64 v[56:57], s[6:7], v[38:39], v[22:23]
	v_add_f64 v[46:47], v[46:47], -v[50:51]
	v_add_f64 v[50:51], v[40:41], -v[48:49]
	;; [unrolled: 1-line block ×3, first 2 shown]
	v_fmac_f64_e32 v[22:23], s[14:15], v[38:39]
	v_add_f64 v[18:19], v[96:97], v[18:19]
	v_fmac_f64_e32 v[56:57], s[10:11], v[46:47]
	v_add_f64 v[50:51], v[62:63], v[50:51]
	;; [unrolled: 2-line block ×3, first 2 shown]
	v_fmac_f64_e32 v[56:57], s[2:3], v[50:51]
	v_fmac_f64_e32 v[22:23], s[2:3], v[50:51]
	v_add_f64 v[50:51], v[40:41], v[64:65]
	v_add_f64 v[28:29], v[32:33], v[28:29]
	;; [unrolled: 1-line block ×3, first 2 shown]
	v_add_f64 v[60:61], v[18:19], -v[60:61]
	v_add_f64 v[18:19], v[20:21], v[40:41]
	v_fmac_f64_e32 v[20:21], -0.5, v[50:51]
	v_add_f64 v[16:17], v[16:17], v[28:29]
	v_fmac_f64_e32 v[122:123], s[10:11], v[134:135]
	v_add_f64 v[18:19], v[18:19], v[48:49]
	v_fma_f64 v[50:51], s[14:15], v[46:47], v[20:21]
	v_add_f64 v[40:41], v[48:49], -v[40:41]
	v_add_f64 v[48:49], v[52:53], -v[64:65]
	v_fmac_f64_e32 v[20:21], s[6:7], v[46:47]
	v_add_f64 v[16:17], v[36:37], v[16:17]
	v_fmac_f64_e32 v[122:123], s[2:3], v[120:121]
	v_mul_f64 v[120:121], v[178:179], s[10:11]
	v_fmac_f64_e32 v[50:51], s[10:11], v[38:39]
	v_add_f64 v[40:41], v[48:49], v[40:41]
	v_fmac_f64_e32 v[20:21], s[12:13], v[38:39]
	v_add_f64 v[32:33], v[44:45], v[16:17]
	v_mul_f64 v[46:47], v[30:31], s[6:7]
	v_mul_f64 v[16:17], v[34:35], s[2:3]
	v_fmac_f64_e32 v[120:121], s[16:17], v[114:115]
	v_mul_f64 v[124:125], v[180:181], s[6:7]
	v_add_f64 v[18:19], v[52:53], v[18:19]
	v_fmac_f64_e32 v[50:51], s[2:3], v[40:41]
	v_fmac_f64_e32 v[20:21], s[2:3], v[40:41]
	v_mul_f64 v[40:41], v[198:199], s[10:11]
	v_fmac_f64_e32 v[46:47], s[2:3], v[42:43]
	v_fma_f64 v[26:27], v[26:27], s[6:7], -v[16:17]
	v_mul_f64 v[16:17], v[194:195], s[16:17]
	v_add_f64 v[114:115], v[138:139], v[120:121]
	v_fmac_f64_e32 v[124:125], s[2:3], v[184:185]
	v_add_f64 v[18:19], v[64:65], v[18:19]
	v_fmac_f64_e32 v[40:41], s[16:17], v[200:201]
	v_add_f64 v[28:29], v[50:51], v[46:47]
	v_add_f64 v[30:31], v[20:21], v[26:27]
	v_fma_f64 v[34:35], v[54:55], s[10:11], -v[16:17]
	v_add_f64 v[116:117], v[122:123], v[124:125]
	v_add_f64 v[120:121], v[138:139], -v[120:121]
	v_add_f64 v[122:123], v[122:123], -v[124:125]
	v_add_f64 v[36:37], v[18:19], v[32:33]
	v_add_f64 v[38:39], v[56:57], v[40:41]
	;; [unrolled: 1-line block ×3, first 2 shown]
	v_add_f64 v[18:19], v[18:19], -v[32:33]
	v_add_f64 v[44:45], v[56:57], -v[40:41]
	;; [unrolled: 1-line block ×5, first 2 shown]
	s_waitcnt lgkmcnt(0)
	; wave barrier
	s_waitcnt lgkmcnt(0)
	ds_write_b128 v216, v[112:115]
	ds_write_b128 v216, v[116:119] offset:16
	ds_write_b128 v216, v[102:105] offset:32
	ds_write_b128 v216, v[120:123] offset:48
	ds_write_b128 v216, v[128:131] offset:64
	ds_write_b128 v217, v[70:73]
	ds_write_b128 v217, v[74:77] offset:16
	ds_write_b128 v217, v[58:61] offset:32
	ds_write_b128 v217, v[78:81] offset:48
	ds_write_b128 v217, v[82:85] offset:64
	;; [unrolled: 5-line block ×3, first 2 shown]
	s_waitcnt lgkmcnt(0)
	; wave barrier
	s_waitcnt lgkmcnt(0)
	ds_read_b64 v[94:95], v210
	ds_read2_b64 v[82:85], v211 offset0:60 offset1:76
	ds_read2_b64 v[60:63], v211 offset0:92 offset1:120
	;; [unrolled: 1-line block ×8, first 2 shown]
	ds_read2_b64 v[30:33], v219 offset1:16
	ds_read2_b64 v[56:59], v219 offset0:120 offset1:136
	ds_read_b64 v[88:89], v213
	ds_read_b64 v[92:93], v212
	ds_read_b64 v[64:65], v211 offset:3616
                                        ; implicit-def: $vgpr38_vgpr39
                                        ; implicit-def: $vgpr96_vgpr97
	s_and_saveexec_b64 s[2:3], s[0:1]
	s_cbranch_execz .LBB0_17
; %bb.16:
	v_add_u32_e32 v17, 0x400, v211
	ds_read2_b64 v[40:43], v211 offset0:108 offset1:168
	ds_read2_b64 v[20:23], v17 offset0:100 offset1:160
	v_add3_u32 v16, 0, v215, v214
	v_add_u32_e32 v17, 0x800, v211
	ds_read2_b64 v[36:39], v17 offset0:92 offset1:152
	ds_read_b64 v[16:17], v16
	ds_read_b64 v[96:97], v211 offset:3744
	s_waitcnt lgkmcnt(4)
	v_mov_b64_e32 v[18:19], v[40:41]
	s_waitcnt lgkmcnt(3)
	v_mov_b64_e32 v[46:47], v[20:21]
	v_mov_b64_e32 v[20:21], v[22:23]
	s_waitcnt lgkmcnt(2)
	v_mov_b64_e32 v[22:23], v[36:37]
	v_mov_b64_e32 v[44:45], v[42:43]
.LBB0_17:
	s_or_b64 exec, exec, s[2:3]
	v_add_u32_e32 v34, -10, v202
	v_cmp_gt_u32_e64 s[2:3], 10, v202
	v_mov_b32_e32 v35, 0
	s_mov_b32 s7, 0xbfe6a09e
	v_cndmask_b32_e64 v176, v34, v202, s[2:3]
	v_mul_i32_i24_e32 v34, 7, v176
	v_lshl_add_u64 v[120:121], v[34:35], 4, s[4:5]
	global_load_dwordx4 v[34:37], v[120:121], off offset:48
	global_load_dwordx4 v[40:43], v[120:121], off offset:32
	;; [unrolled: 1-line block ×3, first 2 shown]
	global_load_dwordx4 v[112:115], v[120:121], off
	s_movk_i32 s2, 0xcd
	s_waitcnt vmcnt(0)
	v_mul_f64 v[100:101], v[170:171], v[114:115]
	s_waitcnt lgkmcnt(12)
	v_mul_f64 v[98:99], v[82:83], v[114:115]
	v_fmac_f64_e32 v[100:101], v[82:83], v[112:113]
	s_waitcnt lgkmcnt(11)
	v_mul_f64 v[82:83], v[62:63], v[104:105]
	v_fma_f64 v[108:109], v[152:153], v[102:103], -v[82:83]
	v_mul_f64 v[82:83], v[152:153], v[104:105]
	v_fmac_f64_e32 v[82:83], v[62:63], v[102:103]
	s_waitcnt lgkmcnt(10)
	v_mul_f64 v[62:63], v[78:79], v[42:43]
	v_mul_f64 v[104:105], v[166:167], v[42:43]
	v_fma_f64 v[102:103], v[166:167], v[40:41], -v[62:63]
	v_fmac_f64_e32 v[104:105], v[78:79], v[40:41]
	s_waitcnt lgkmcnt(9)
	v_mul_f64 v[40:41], v[28:29], v[36:37]
	v_fma_f64 v[78:79], v[14:15], v[34:35], -v[40:41]
	global_load_dwordx4 v[40:43], v[120:121], off offset:96
	global_load_dwordx4 v[116:119], v[120:121], off offset:80
	s_nop 0
	global_load_dwordx4 v[120:123], v[120:121], off offset:64
	v_fma_f64 v[98:99], v[170:171], v[112:113], -v[98:99]
	s_waitcnt vmcnt(0) lgkmcnt(8)
	v_mul_f64 v[62:63], v[74:75], v[122:123]
	v_mul_f64 v[114:115], v[162:163], v[122:123]
	;; [unrolled: 1-line block ×3, first 2 shown]
	v_fma_f64 v[112:113], v[162:163], v[120:121], -v[62:63]
	s_waitcnt lgkmcnt(7)
	v_mul_f64 v[62:63], v[54:55], v[118:119]
	v_fmac_f64_e32 v[122:123], v[54:55], v[116:117]
	s_waitcnt lgkmcnt(6)
	v_mul_f64 v[54:55], v[48:49], v[42:43]
	v_mul_f64 v[118:119], v[158:159], v[42:43]
	v_fmac_f64_e32 v[114:115], v[74:75], v[120:121]
	v_fma_f64 v[120:121], v[144:145], v[116:117], -v[62:63]
	v_fma_f64 v[116:117], v[158:159], v[40:41], -v[54:55]
	v_fmac_f64_e32 v[118:119], v[48:49], v[40:41]
	v_mul_lo_u16_sdwa v40, v207, s2 dst_sel:DWORD dst_unused:UNUSED_PAD src0_sel:BYTE_0 src1_sel:DWORD
	v_lshrrev_b16_e32 v162, 11, v40
	v_mul_lo_u16_e32 v40, 10, v162
	v_sub_u16_e32 v163, v207, v40
	v_mul_lo_u16_e32 v40, 7, v163
	v_mov_b32_e32 v41, 4
	v_lshlrev_b32_sdwa v54, v41, v40 dst_sel:DWORD dst_unused:UNUSED_PAD src0_sel:DWORD src1_sel:BYTE_0
	global_load_dwordx4 v[40:43], v54, s[4:5] offset:48
	global_load_dwordx4 v[132:135], v54, s[4:5] offset:32
	;; [unrolled: 1-line block ×3, first 2 shown]
	global_load_dwordx4 v[178:181], v54, s[4:5]
	s_waitcnt vmcnt(1)
	v_mul_f64 v[74:75], v[154:155], v[138:139]
	s_waitcnt vmcnt(0)
	v_mul_f64 v[48:49], v[84:85], v[180:181]
	v_fma_f64 v[124:125], v[172:173], v[178:179], -v[48:49]
	s_waitcnt lgkmcnt(5)
	v_mul_f64 v[48:49], v[70:71], v[138:139]
	v_mul_f64 v[128:129], v[172:173], v[180:181]
	v_fma_f64 v[130:131], v[154:155], v[136:137], -v[48:49]
	v_mul_f64 v[48:49], v[80:81], v[134:135]
	v_fmac_f64_e32 v[128:129], v[84:85], v[178:179]
	v_fmac_f64_e32 v[74:75], v[70:71], v[136:137]
	v_fma_f64 v[70:71], v[168:169], v[132:133], -v[48:49]
	v_mul_f64 v[84:85], v[168:169], v[134:135]
	global_load_dwordx4 v[152:155], v54, s[4:5] offset:96
	global_load_dwordx4 v[136:139], v54, s[4:5] offset:80
	;; [unrolled: 1-line block ×3, first 2 shown]
	s_waitcnt lgkmcnt(4)
	v_mul_f64 v[48:49], v[30:31], v[42:43]
	v_fmac_f64_e32 v[84:85], v[80:81], v[132:133]
	v_fma_f64 v[80:81], v[8:9], v[40:41], -v[48:49]
	v_add_f64 v[80:81], v[90:91], -v[80:81]
	s_waitcnt vmcnt(1)
	v_mul_f64 v[144:145], v[146:147], v[138:139]
	s_waitcnt vmcnt(0)
	v_mul_f64 v[48:49], v[76:77], v[168:169]
	v_fma_f64 v[132:133], v[164:165], v[166:167], -v[48:49]
	s_waitcnt lgkmcnt(3)
	v_mul_f64 v[48:49], v[56:57], v[138:139]
	v_fma_f64 v[140:141], v[146:147], v[136:137], -v[48:49]
	v_mul_f64 v[48:49], v[50:51], v[154:155]
	v_fmac_f64_e32 v[144:145], v[56:57], v[136:137]
	v_fma_f64 v[136:137], v[160:161], v[152:153], -v[48:49]
	v_mul_lo_u16_sdwa v48, v208, s2 dst_sel:DWORD dst_unused:UNUSED_PAD src0_sel:BYTE_0 src1_sel:DWORD
	v_mul_f64 v[134:135], v[164:165], v[168:169]
	v_lshrrev_b16_e32 v164, 11, v48
	v_mul_lo_u16_e32 v48, 10, v164
	v_sub_u16_e32 v165, v208, v48
	v_mov_b32_e32 v168, 7
	v_mul_u32_u24_sdwa v48, v165, v168 dst_sel:DWORD dst_unused:UNUSED_PAD src0_sel:BYTE_0 src1_sel:DWORD
	v_fmac_f64_e32 v[134:135], v[76:77], v[166:167]
	v_mul_f64 v[138:139], v[160:161], v[154:155]
	v_lshlrev_b32_e32 v166, 4, v48
	v_fmac_f64_e32 v[138:139], v[50:51], v[152:153]
	global_load_dwordx4 v[48:51], v166, s[4:5] offset:48
	global_load_dwordx4 v[54:57], v166, s[4:5] offset:32
	;; [unrolled: 1-line block ×3, first 2 shown]
	global_load_dwordx4 v[152:155], v166, s[4:5]
	s_waitcnt vmcnt(1)
	v_mul_f64 v[76:77], v[156:157], v[160:161]
	s_waitcnt vmcnt(0)
	v_mul_f64 v[62:63], v[60:61], v[154:155]
	v_fma_f64 v[146:147], v[150:151], v[152:153], -v[62:63]
	v_mul_f64 v[150:151], v[150:151], v[154:155]
	v_fmac_f64_e32 v[150:151], v[60:61], v[152:153]
	v_mul_f64 v[60:61], v[72:73], v[160:161]
	v_fma_f64 v[152:153], v[156:157], v[158:159], -v[60:61]
	v_mul_f64 v[60:61], v[26:27], v[56:57]
	v_fmac_f64_e32 v[76:77], v[72:73], v[158:159]
	v_fma_f64 v[72:73], v[12:13], v[54:55], -v[60:61]
	v_mul_f64 v[12:13], v[12:13], v[56:57]
	v_fmac_f64_e32 v[12:13], v[26:27], v[54:55]
	global_load_dwordx4 v[54:57], v166, s[4:5] offset:96
	global_load_dwordx4 v[60:63], v166, s[4:5] offset:80
	;; [unrolled: 1-line block ×3, first 2 shown]
	v_mul_f64 v[26:27], v[32:33], v[50:51]
	v_fma_f64 v[26:27], v[10:11], v[48:49], -v[26:27]
	s_waitcnt vmcnt(0)
	v_mul_f64 v[154:155], v[52:53], v[158:159]
	v_fma_f64 v[154:155], v[142:143], v[156:157], -v[154:155]
	v_mul_f64 v[142:143], v[142:143], v[158:159]
	v_fmac_f64_e32 v[142:143], v[52:53], v[156:157]
	v_mul_f64 v[52:53], v[58:59], v[62:63]
	v_fma_f64 v[156:157], v[148:149], v[60:61], -v[52:53]
	s_waitcnt lgkmcnt(0)
	v_mul_f64 v[52:53], v[64:65], v[56:57]
	v_fma_f64 v[52:53], v[126:127], v[54:55], -v[52:53]
	v_mul_f64 v[126:127], v[126:127], v[56:57]
	v_fmac_f64_e32 v[126:127], v[64:65], v[54:55]
	v_mul_lo_u16_sdwa v54, v209, s2 dst_sel:DWORD dst_unused:UNUSED_PAD src0_sel:BYTE_0 src1_sel:DWORD
	v_lshrrev_b16_e32 v166, 11, v54
	v_mul_lo_u16_e32 v54, 10, v166
	v_sub_u16_e32 v167, v209, v54
	v_mul_u32_u24_sdwa v54, v167, v168 dst_sel:DWORD dst_unused:UNUSED_PAD src0_sel:BYTE_0 src1_sel:DWORD
	v_mul_f64 v[148:149], v[148:149], v[62:63]
	v_lshlrev_b32_e32 v172, 4, v54
	v_fmac_f64_e32 v[148:149], v[58:59], v[60:61]
	global_load_dwordx4 v[54:57], v172, s[4:5] offset:48
	global_load_dwordx4 v[58:61], v172, s[4:5] offset:32
	;; [unrolled: 1-line block ×3, first 2 shown]
	global_load_dwordx4 v[168:171], v172, s[4:5]
	s_mov_b32 s2, 0x667f3bcd
	s_mov_b32 s3, 0x3fe6a09e
	;; [unrolled: 1-line block ×3, first 2 shown]
	s_waitcnt vmcnt(0)
	v_mul_f64 v[158:159], v[18:19], v[170:171]
	v_fma_f64 v[158:159], v[6:7], v[168:169], -v[158:159]
	v_mul_f64 v[160:161], v[6:7], v[170:171]
	v_mul_f64 v[6:7], v[44:45], v[64:65]
	v_fmac_f64_e32 v[160:161], v[18:19], v[168:169]
	v_fma_f64 v[18:19], v[66:67], v[62:63], -v[6:7]
	v_mul_f64 v[6:7], v[66:67], v[64:65]
	v_fmac_f64_e32 v[6:7], v[44:45], v[62:63]
	v_mul_f64 v[44:45], v[46:47], v[60:61]
	v_fma_f64 v[66:67], v[68:69], v[58:59], -v[44:45]
	v_mul_f64 v[68:69], v[68:69], v[60:61]
	v_fmac_f64_e32 v[68:69], v[46:47], v[58:59]
	global_load_dwordx4 v[44:47], v172, s[4:5] offset:96
	global_load_dwordx4 v[58:61], v172, s[4:5] offset:80
	global_load_dwordx4 v[62:65], v172, s[4:5] offset:64
	s_waitcnt lgkmcnt(0)
	; wave barrier
	s_waitcnt vmcnt(2)
	v_mul_f64 v[180:181], v[110:111], v[46:47]
	v_fmac_f64_e32 v[180:181], v[96:97], v[44:45]
	s_waitcnt vmcnt(0)
	v_mul_f64 v[168:169], v[22:23], v[64:65]
	v_fma_f64 v[168:169], v[2:3], v[62:63], -v[168:169]
	v_mul_f64 v[170:171], v[2:3], v[64:65]
	v_mul_f64 v[2:3], v[38:39], v[60:61]
	;; [unrolled: 1-line block ×3, first 2 shown]
	v_fmac_f64_e32 v[170:171], v[22:23], v[62:63]
	v_fma_f64 v[172:173], v[24:25], v[58:59], -v[2:3]
	v_fmac_f64_e32 v[60:61], v[38:39], v[58:59]
	v_mul_f64 v[2:3], v[96:97], v[46:47]
	v_add_f64 v[38:39], v[106:107], -v[78:79]
	v_add_f64 v[22:23], v[82:83], -v[122:123]
	;; [unrolled: 1-line block ×6, first 2 shown]
	v_fma_f64 v[178:179], v[110:111], v[44:45], -v[2:3]
	v_add_f64 v[2:3], v[108:109], -v[120:121]
	v_fma_f64 v[64:65], v[98:99], 2.0, -v[58:59]
	v_fma_f64 v[24:25], v[100:101], 2.0, -v[62:63]
	;; [unrolled: 1-line block ×4, first 2 shown]
	v_add_f64 v[104:105], v[38:39], -v[22:23]
	v_add_f64 v[96:97], v[58:59], -v[96:97]
	v_fma_f64 v[44:45], v[106:107], 2.0, -v[38:39]
	v_fma_f64 v[46:47], v[108:109], 2.0, -v[2:3]
	;; [unrolled: 1-line block ×3, first 2 shown]
	v_add_f64 v[38:39], v[64:65], -v[98:99]
	v_add_f64 v[98:99], v[62:63], v[78:79]
	v_fma_f64 v[78:79], v[58:59], 2.0, -v[96:97]
	v_add_f64 v[102:103], v[44:45], -v[46:47]
	v_fma_f64 v[62:63], v[62:63], 2.0, -v[98:99]
	v_fma_f64 v[186:187], s[6:7], v[78:79], v[106:107]
	v_fma_f64 v[194:195], s[2:3], v[96:97], v[104:105]
	v_fma_f64 v[46:47], v[44:45], 2.0, -v[102:103]
	v_fma_f64 v[64:65], v[64:65], 2.0, -v[38:39]
	v_fmac_f64_e32 v[186:187], s[6:7], v[62:63]
	v_fmac_f64_e32 v[194:195], s[6:7], v[98:99]
	v_add_f64 v[44:45], v[24:25], -v[100:101]
	v_add_f64 v[182:183], v[46:47], -v[64:65]
	v_fma_f64 v[188:189], v[106:107], 2.0, -v[186:187]
	v_fma_f64 v[196:197], v[104:105], 2.0, -v[194:195]
	v_add_f64 v[64:65], v[130:131], -v[140:141]
	v_add_f64 v[104:105], v[124:125], -v[132:133]
	;; [unrolled: 1-line block ×5, first 2 shown]
	v_fma_f64 v[184:185], v[46:47], 2.0, -v[182:183]
	v_mul_f64 v[46:47], v[78:79], s[2:3]
	v_mul_f64 v[58:59], v[62:63], s[2:3]
	v_add_f64 v[190:191], v[102:103], -v[44:45]
	v_mul_f64 v[62:63], v[96:97], s[2:3]
	v_mul_f64 v[78:79], v[98:99], s[2:3]
	v_fma_f64 v[98:99], v[90:91], 2.0, -v[80:81]
	v_add_f64 v[90:91], v[74:75], -v[144:145]
	v_fma_f64 v[100:101], v[130:131], 2.0, -v[64:65]
	v_fma_f64 v[108:109], v[124:125], 2.0, -v[104:105]
	;; [unrolled: 1-line block ×6, first 2 shown]
	v_add_f64 v[114:115], v[98:99], -v[100:101]
	v_add_f64 v[116:117], v[80:81], -v[90:91]
	;; [unrolled: 1-line block ×5, first 2 shown]
	v_fma_f64 v[80:81], v[80:81], 2.0, -v[116:117]
	v_fma_f64 v[70:71], v[108:109], 2.0, -v[100:101]
	v_add_f64 v[112:113], v[106:107], v[110:111]
	v_fma_f64 v[108:109], v[104:105], 2.0, -v[84:85]
	v_fma_f64 v[98:99], v[98:99], 2.0, -v[114:115]
	;; [unrolled: 1-line block ×3, first 2 shown]
	v_fma_f64 v[132:133], s[6:7], v[108:109], v[80:81]
	v_add_f64 v[128:129], v[98:99], -v[70:71]
	v_fmac_f64_e32 v[132:133], s[6:7], v[110:111]
	v_fma_f64 v[140:141], s[2:3], v[84:85], v[116:117]
	v_add_f64 v[70:71], v[86:87], -v[26:27]
	v_mul_f64 v[106:107], v[110:111], s[2:3]
	v_fma_f64 v[134:135], v[80:81], 2.0, -v[132:133]
	v_mul_f64 v[110:111], v[112:113], s[2:3]
	v_fmac_f64_e32 v[140:141], s[6:7], v[112:113]
	v_fma_f64 v[80:81], v[86:87], 2.0, -v[70:71]
	v_add_f64 v[26:27], v[152:153], -v[156:157]
	v_add_f64 v[112:113], v[76:77], -v[148:149]
	;; [unrolled: 1-line block ×5, first 2 shown]
	v_fma_f64 v[130:131], v[98:99], 2.0, -v[128:129]
	v_mul_f64 v[104:105], v[108:109], s[2:3]
	v_add_f64 v[136:137], v[114:115], -v[102:103]
	v_mul_f64 v[108:109], v[84:85], s[2:3]
	v_fma_f64 v[144:145], v[116:117], 2.0, -v[140:141]
	v_fma_f64 v[84:85], v[152:153], 2.0, -v[26:27]
	v_add_f64 v[98:99], v[150:151], -v[142:143]
	v_fma_f64 v[116:117], v[146:147], 2.0, -v[86:87]
	v_fma_f64 v[52:53], v[72:73], 2.0, -v[118:119]
	v_add_f64 v[124:125], v[70:71], -v[112:113]
	v_add_f64 v[126:127], v[86:87], -v[120:121]
	v_fma_f64 v[138:139], v[114:115], 2.0, -v[136:137]
	v_fma_f64 v[114:115], v[150:151], 2.0, -v[98:99]
	;; [unrolled: 1-line block ×3, first 2 shown]
	v_add_f64 v[84:85], v[80:81], -v[84:85]
	v_fma_f64 v[70:71], v[70:71], 2.0, -v[124:125]
	v_add_f64 v[52:53], v[116:117], -v[52:53]
	v_add_f64 v[142:143], v[98:99], v[118:119]
	v_fma_f64 v[86:87], v[86:87], 2.0, -v[126:127]
	v_fma_f64 v[80:81], v[80:81], 2.0, -v[84:85]
	v_add_f64 v[72:73], v[114:115], -v[12:13]
	v_fma_f64 v[12:13], v[116:117], 2.0, -v[52:53]
	v_fma_f64 v[98:99], v[98:99], 2.0, -v[142:143]
	v_fma_f64 v[150:151], s[6:7], v[86:87], v[70:71]
	v_add_f64 v[146:147], v[80:81], -v[12:13]
	v_mul_f64 v[116:117], v[86:87], s[2:3]
	v_mul_f64 v[118:119], v[98:99], s[2:3]
	v_fmac_f64_e32 v[150:151], s[6:7], v[98:99]
	v_add_f64 v[154:155], v[84:85], -v[72:73]
	v_mul_f64 v[120:121], v[126:127], s[2:3]
	v_fma_f64 v[198:199], s[2:3], v[126:127], v[124:125]
	v_add_f64 v[86:87], v[160:161], -v[170:171]
	v_add_f64 v[98:99], v[66:67], -v[178:179]
	;; [unrolled: 1-line block ×3, first 2 shown]
	v_fma_f64 v[148:149], v[80:81], 2.0, -v[146:147]
	v_fma_f64 v[152:153], v[70:71], 2.0, -v[150:151]
	;; [unrolled: 1-line block ×3, first 2 shown]
	v_add_f64 v[80:81], v[6:7], -v[60:61]
	v_add_f64 v[84:85], v[158:159], -v[168:169]
	v_fma_f64 v[70:71], v[160:161], 2.0, -v[86:87]
	v_fma_f64 v[60:61], v[66:67], 2.0, -v[98:99]
	v_fma_f64 v[66:67], v[68:69], 2.0, -v[126:127]
	v_fmac_f64_e32 v[198:199], s[6:7], v[142:143]
	v_add_f64 v[68:69], v[70:71], -v[66:67]
	v_add_f64 v[66:67], v[84:85], -v[126:127]
	v_add_f64 v[126:127], v[86:87], v[98:99]
	v_mul_f64 v[122:123], v[142:143], s[2:3]
	v_fma_f64 v[142:143], v[124:125], 2.0, -v[198:199]
	v_fma_f64 v[124:125], v[158:159], 2.0, -v[84:85]
	;; [unrolled: 1-line block ×4, first 2 shown]
	v_mul_f64 v[86:87], v[84:85], s[2:3]
	v_mul_f64 v[98:99], v[98:99], s[2:3]
	;; [unrolled: 1-line block ×4, first 2 shown]
	v_cmp_lt_u32_e64 s[2:3], 9, v202
	v_mov_b32_e32 v126, 0x50
	v_mul_lo_u16_e32 v127, 0x50, v162
	v_cndmask_b32_e64 v126, 0, v126, s[2:3]
	v_or_b32_e32 v126, v126, v176
	v_or_b32_e32 v127, v127, v163
	v_mov_b32_e32 v158, 3
	v_lshlrev_b32_e32 v126, 3, v126
	v_lshlrev_b32_sdwa v127, v158, v127 dst_sel:DWORD dst_unused:UNUSED_PAD src0_sel:DWORD src1_sel:BYTE_0
	v_add3_u32 v126, 0, v126, v214
	v_add3_u32 v127, 0, v127, v214
	ds_write2_b64 v126, v[184:185], v[188:189] offset1:10
	ds_write2_b64 v126, v[192:193], v[196:197] offset0:20 offset1:30
	ds_write2_b64 v126, v[182:183], v[186:187] offset0:40 offset1:50
	;; [unrolled: 1-line block ×3, first 2 shown]
	ds_write2_b64 v127, v[130:131], v[134:135] offset1:10
	ds_write2_b64 v127, v[138:139], v[144:145] offset0:20 offset1:30
	ds_write2_b64 v127, v[128:129], v[132:133] offset0:40 offset1:50
	;; [unrolled: 1-line block ×3, first 2 shown]
	v_mul_u32_u24_e32 v128, 0x50, v164
	v_or_b32_sdwa v128, v128, v165 dst_sel:DWORD dst_unused:UNUSED_PAD src0_sel:DWORD src1_sel:BYTE_0
	v_lshlrev_b32_e32 v128, 3, v128
	v_add_f64 v[12:13], v[18:19], -v[172:173]
	v_add_f64 v[60:61], v[124:125], -v[60:61]
	v_add3_u32 v128, 0, v128, v214
	ds_write2_b64 v128, v[148:149], v[152:153] offset1:10
	ds_write2_b64 v128, v[156:157], v[142:143] offset0:20 offset1:30
	ds_write2_b64 v128, v[146:147], v[150:151] offset0:40 offset1:50
	;; [unrolled: 1-line block ×3, first 2 shown]
	s_and_saveexec_b64 s[2:3], s[0:1]
	s_cbranch_execz .LBB0_19
; %bb.18:
	v_mul_f64 v[130:131], v[20:21], v[56:57]
	v_fma_f64 v[130:131], v[0:1], v[54:55], -v[130:131]
	v_add_f64 v[130:131], v[4:5], -v[130:131]
	v_fma_f64 v[4:5], v[4:5], 2.0, -v[130:131]
	v_fma_f64 v[18:19], v[18:19], 2.0, -v[12:13]
	v_add_f64 v[132:133], v[130:131], -v[80:81]
	v_add_f64 v[18:19], v[4:5], -v[18:19]
	v_add_f64 v[134:135], v[132:133], v[66:67]
	v_add_f64 v[138:139], v[18:19], -v[68:69]
	v_add_f64 v[134:135], v[134:135], -v[84:85]
	v_fma_f64 v[140:141], v[18:19], 2.0, -v[138:139]
	v_fma_f64 v[130:131], v[130:131], 2.0, -v[132:133]
	;; [unrolled: 1-line block ×4, first 2 shown]
	v_mul_u32_u24_e32 v124, 0x50, v166
	v_fma_f64 v[136:137], v[132:133], 2.0, -v[134:135]
	v_add_f64 v[132:133], v[130:131], -v[86:87]
	v_or_b32_sdwa v124, v124, v167 dst_sel:DWORD dst_unused:UNUSED_PAD src0_sel:DWORD src1_sel:BYTE_0
	v_add_f64 v[132:133], v[132:133], -v[98:99]
	v_add_f64 v[18:19], v[4:5], -v[18:19]
	v_lshlrev_b32_e32 v124, 3, v124
	v_fma_f64 v[130:131], v[130:131], 2.0, -v[132:133]
	v_fma_f64 v[4:5], v[4:5], 2.0, -v[18:19]
	v_add3_u32 v124, 0, v124, v214
	ds_write2_b64 v124, v[4:5], v[130:131] offset1:10
	ds_write2_b64 v124, v[140:141], v[136:137] offset0:20 offset1:30
	ds_write2_b64 v124, v[18:19], v[132:133] offset0:40 offset1:50
	;; [unrolled: 1-line block ×3, first 2 shown]
.LBB0_19:
	s_or_b64 exec, exec, s[2:3]
	v_mul_f64 v[4:5], v[14:15], v[36:37]
	v_fmac_f64_e32 v[4:5], v[28:29], v[34:35]
	v_add_f64 v[4:5], v[94:95], -v[4:5]
	v_fma_f64 v[14:15], v[94:95], 2.0, -v[4:5]
	v_fma_f64 v[18:19], v[82:83], 2.0, -v[22:23]
	v_add_f64 v[18:19], v[14:15], -v[18:19]
	v_add_f64 v[2:3], v[4:5], v[2:3]
	v_mul_f64 v[8:9], v[8:9], v[42:43]
	v_fma_f64 v[14:15], v[14:15], 2.0, -v[18:19]
	v_fma_f64 v[4:5], v[4:5], 2.0, -v[2:3]
	;; [unrolled: 1-line block ×3, first 2 shown]
	v_fmac_f64_e32 v[8:9], v[30:31], v[40:41]
	v_add_f64 v[82:83], v[14:15], -v[22:23]
	v_add_f64 v[22:23], v[4:5], -v[58:59]
	v_add_f64 v[58:59], v[46:47], v[22:23]
	v_add_f64 v[22:23], v[2:3], v[78:79]
	v_add_f64 v[8:9], v[92:93], -v[8:9]
	v_add_f64 v[130:131], v[62:63], v[22:23]
	v_fma_f64 v[22:23], v[92:93], 2.0, -v[8:9]
	v_fma_f64 v[24:25], v[74:75], 2.0, -v[90:91]
	v_add_f64 v[24:25], v[22:23], -v[24:25]
	v_fma_f64 v[22:23], v[22:23], 2.0, -v[24:25]
	v_add_f64 v[28:29], v[8:9], v[64:65]
	v_fma_f64 v[30:31], v[96:97], 2.0, -v[102:103]
	v_mul_f64 v[10:11], v[10:11], v[50:51]
	v_fma_f64 v[8:9], v[8:9], 2.0, -v[28:29]
	v_add_f64 v[96:97], v[22:23], -v[30:31]
	v_fmac_f64_e32 v[10:11], v[32:33], v[48:49]
	v_fma_f64 v[102:103], v[22:23], 2.0, -v[96:97]
	v_add_f64 v[22:23], v[8:9], -v[106:107]
	v_add_f64 v[104:105], v[104:105], v[22:23]
	v_add_f64 v[100:101], v[24:25], v[100:101]
	;; [unrolled: 1-line block ×3, first 2 shown]
	v_add_f64 v[10:11], v[88:89], -v[10:11]
	v_fma_f64 v[106:107], v[24:25], 2.0, -v[100:101]
	v_add_f64 v[108:109], v[108:109], v[22:23]
	v_fma_f64 v[22:23], v[88:89], 2.0, -v[10:11]
	v_fma_f64 v[24:25], v[76:77], 2.0, -v[112:113]
	v_add_f64 v[24:25], v[22:23], -v[24:25]
	v_fma_f64 v[110:111], v[28:29], 2.0, -v[108:109]
	v_fma_f64 v[22:23], v[22:23], 2.0, -v[24:25]
	v_add_f64 v[26:27], v[10:11], v[26:27]
	v_fma_f64 v[28:29], v[114:115], 2.0, -v[72:73]
	v_fma_f64 v[10:11], v[10:11], 2.0, -v[26:27]
	v_add_f64 v[114:115], v[22:23], -v[28:29]
	v_fma_f64 v[132:133], v[22:23], 2.0, -v[114:115]
	v_add_f64 v[22:23], v[10:11], -v[118:119]
	v_add_f64 v[118:119], v[116:117], v[22:23]
	v_add_f64 v[22:23], v[26:27], v[122:123]
	;; [unrolled: 1-line block ×4, first 2 shown]
	v_add_u32_e32 v72, 0x800, v211
	v_add_f64 v[124:125], v[18:19], v[38:39]
	v_fma_f64 v[142:143], v[24:25], 2.0, -v[134:135]
	v_fma_f64 v[122:123], v[26:27], 2.0, -v[120:121]
	s_waitcnt lgkmcnt(0)
	; wave barrier
	s_waitcnt lgkmcnt(0)
	ds_read2_b64 v[22:25], v211 offset0:64 offset1:80
	ds_read2_b64 v[34:37], v211 offset0:160 offset1:176
	;; [unrolled: 1-line block ×6, first 2 shown]
	ds_read2_b64 v[50:53], v72 offset1:16
	ds_read2_b64 v[46:49], v72 offset0:160 offset1:176
	ds_read2_b64 v[92:95], v211 offset0:192 offset1:208
	;; [unrolled: 1-line block ×3, first 2 shown]
	v_add3_u32 v116, 0, v215, v214
	ds_read_b64 v[136:137], v210
	ds_read_b64 v[138:139], v212
	;; [unrolled: 1-line block ×4, first 2 shown]
	ds_read2_b64 v[62:65], v211 offset0:128 offset1:144
	ds_read2_b64 v[76:79], v72 offset0:32 offset1:48
	;; [unrolled: 1-line block ×3, first 2 shown]
	v_fma_f64 v[14:15], v[14:15], 2.0, -v[82:83]
	v_fma_f64 v[4:5], v[4:5], 2.0, -v[58:59]
	;; [unrolled: 1-line block ×6, first 2 shown]
	s_waitcnt lgkmcnt(0)
	; wave barrier
	s_waitcnt lgkmcnt(0)
	ds_write2_b64 v126, v[14:15], v[4:5] offset1:10
	ds_write2_b64 v126, v[18:19], v[2:3] offset0:20 offset1:30
	ds_write2_b64 v126, v[82:83], v[58:59] offset0:40 offset1:50
	ds_write2_b64 v126, v[124:125], v[130:131] offset0:60 offset1:70
	ds_write2_b64 v127, v[102:103], v[8:9] offset1:10
	ds_write2_b64 v127, v[106:107], v[110:111] offset0:20 offset1:30
	ds_write2_b64 v127, v[96:97], v[104:105] offset0:40 offset1:50
	ds_write2_b64 v127, v[100:101], v[108:109] offset0:60 offset1:70
	;; [unrolled: 4-line block ×3, first 2 shown]
	s_and_saveexec_b64 s[2:3], s[0:1]
	s_cbranch_execz .LBB0_21
; %bb.20:
	v_mul_f64 v[0:1], v[0:1], v[56:57]
	v_fmac_f64_e32 v[0:1], v[20:21], v[54:55]
	v_add_f64 v[0:1], v[16:17], -v[0:1]
	v_fma_f64 v[2:3], v[16:17], 2.0, -v[0:1]
	v_fma_f64 v[4:5], v[6:7], 2.0, -v[80:81]
	v_add_f64 v[6:7], v[0:1], v[12:13]
	v_add_f64 v[4:5], v[2:3], -v[4:5]
	v_fma_f64 v[0:1], v[0:1], 2.0, -v[6:7]
	v_mul_u32_u24_e32 v16, 0x50, v166
	v_fma_f64 v[2:3], v[2:3], 2.0, -v[4:5]
	v_fma_f64 v[8:9], v[70:71], 2.0, -v[68:69]
	v_add_f64 v[10:11], v[0:1], -v[98:99]
	v_or_b32_sdwa v16, v16, v167 dst_sel:DWORD dst_unused:UNUSED_PAD src0_sel:DWORD src1_sel:BYTE_0
	v_add_f64 v[8:9], v[2:3], -v[8:9]
	v_add_f64 v[10:11], v[86:87], v[10:11]
	v_add_f64 v[14:15], v[6:7], v[84:85]
	v_lshlrev_b32_e32 v16, 3, v16
	v_fma_f64 v[2:3], v[2:3], 2.0, -v[8:9]
	v_fma_f64 v[0:1], v[0:1], 2.0, -v[10:11]
	v_add_f64 v[12:13], v[4:5], v[60:61]
	v_add_f64 v[14:15], v[66:67], v[14:15]
	v_add3_u32 v16, 0, v16, v214
	v_fma_f64 v[4:5], v[4:5], 2.0, -v[12:13]
	v_fma_f64 v[6:7], v[6:7], 2.0, -v[14:15]
	ds_write2_b64 v16, v[2:3], v[0:1] offset1:10
	ds_write2_b64 v16, v[4:5], v[6:7] offset0:20 offset1:30
	ds_write2_b64 v16, v[8:9], v[10:11] offset0:40 offset1:50
	ds_write2_b64 v16, v[12:13], v[14:15] offset0:60 offset1:70
.LBB0_21:
	s_or_b64 exec, exec, s[2:3]
	s_waitcnt lgkmcnt(0)
	; wave barrier
	s_waitcnt lgkmcnt(0)
	s_and_saveexec_b64 s[0:1], vcc
	s_cbranch_execz .LBB0_23
; %bb.22:
	v_mul_u32_u24_e32 v0, 5, v204
	v_lshlrev_b32_e32 v20, 4, v0
	global_load_dwordx4 v[0:3], v20, s[4:5] offset:1136
	global_load_dwordx4 v[4:7], v20, s[4:5] offset:1168
	;; [unrolled: 1-line block ×5, first 2 shown]
	v_mul_i32_i24_e32 v114, 5, v209
	v_mov_b32_e32 v115, 0
	v_add_u32_e32 v142, 0x800, v211
	v_lshl_add_u64 v[20:21], v[114:115], 4, s[4:5]
	ds_read2_b64 v[58:61], v211 offset0:224 offset1:240
	ds_read2_b64 v[54:57], v211 offset0:64 offset1:80
	;; [unrolled: 1-line block ×5, first 2 shown]
	global_load_dwordx4 v[96:99], v[20:21], off offset:1152
	global_load_dwordx4 v[118:121], v[20:21], off offset:1136
	;; [unrolled: 1-line block ×3, first 2 shown]
	ds_read2_b64 v[100:103], v142 offset0:192 offset1:208
	global_load_dwordx4 v[104:107], v[20:21], off offset:1120
	global_load_dwordx4 v[108:111], v[20:21], off offset:1184
	s_mov_b32 s0, 0xe8584caa
	s_mov_b32 s1, 0x3febb67a
	;; [unrolled: 1-line block ×4, first 2 shown]
	v_mul_i32_i24_e32 v114, 5, v208
	ds_read2_b64 v[144:147], v211 offset0:192 offset1:208
	ds_read2_b64 v[148:151], v142 offset0:96 offset1:112
	s_waitcnt vmcnt(9) lgkmcnt(7)
	v_mul_f64 v[20:21], v[2:3], v[58:59]
	s_waitcnt vmcnt(8) lgkmcnt(4)
	v_mul_f64 v[66:67], v[6:7], v[68:69]
	v_mul_f64 v[58:59], v[0:1], v[58:59]
	;; [unrolled: 1-line block ×3, first 2 shown]
	s_waitcnt vmcnt(7)
	v_mul_f64 v[126:127], v[10:11], v[82:83]
	s_waitcnt vmcnt(6) lgkmcnt(3)
	v_mul_f64 v[128:129], v[14:15], v[86:87]
	s_waitcnt vmcnt(5) lgkmcnt(2)
	v_mul_f64 v[130:131], v[18:19], v[102:103]
	v_mul_f64 v[86:87], v[12:13], v[86:87]
	;; [unrolled: 1-line block ×4, first 2 shown]
	v_fmac_f64_e32 v[58:59], v[26:27], v[2:3]
	v_fmac_f64_e32 v[68:69], v[30:31], v[6:7]
	v_fma_f64 v[2:3], v[64:65], v[8:9], -v[126:127]
	v_fma_f64 v[6:7], v[78:79], v[12:13], -v[128:129]
	;; [unrolled: 1-line block ×3, first 2 shown]
	v_fmac_f64_e32 v[86:87], v[78:79], v[14:15]
	v_fmac_f64_e32 v[102:103], v[74:75], v[18:19]
	v_fma_f64 v[0:1], v[26:27], v[0:1], -v[20:21]
	v_fma_f64 v[4:5], v[30:31], v[4:5], -v[66:67]
	v_fmac_f64_e32 v[82:83], v[64:65], v[10:11]
	v_add_f64 v[14:15], v[6:7], v[8:9]
	v_add_f64 v[20:21], v[86:87], v[102:103]
	v_add_f64 v[10:11], v[0:1], -v[4:5]
	v_add_f64 v[12:13], v[58:59], v[68:69]
	v_add_f64 v[16:17], v[86:87], -v[102:103]
	v_add_f64 v[18:19], v[6:7], -v[8:9]
	v_add_f64 v[26:27], v[58:59], v[54:55]
	v_add_f64 v[30:31], v[82:83], v[86:87]
	;; [unrolled: 1-line block ×5, first 2 shown]
	v_fma_f64 v[2:3], -0.5, v[14:15], v[2:3]
	v_fma_f64 v[14:15], -0.5, v[20:21], v[82:83]
	v_add_f64 v[58:59], v[58:59], -v[68:69]
	v_fma_f64 v[12:13], -0.5, v[12:13], v[54:55]
	v_add_f64 v[20:21], v[68:69], v[26:27]
	v_add_f64 v[26:27], v[30:31], v[102:103]
	v_fma_f64 v[30:31], -0.5, v[64:65], v[22:23]
	v_add_f64 v[54:55], v[0:1], v[4:5]
	v_add_f64 v[64:65], v[6:7], v[8:9]
	v_fma_f64 v[0:1], s[2:3], v[16:17], v[2:3]
	v_fma_f64 v[8:9], s[0:1], v[18:19], v[14:15]
	v_fmac_f64_e32 v[2:3], s[0:1], v[16:17]
	v_fmac_f64_e32 v[14:15], s[2:3], v[18:19]
	v_fma_f64 v[16:17], s[2:3], v[58:59], v[30:31]
	v_fmac_f64_e32 v[30:31], s[0:1], v[58:59]
	v_mul_f64 v[18:19], v[8:9], -0.5
	v_mul_f64 v[58:59], v[2:3], s[2:3]
	v_fma_f64 v[22:23], s[0:1], v[10:11], v[12:13]
	v_fmac_f64_e32 v[12:13], s[2:3], v[10:11]
	v_mul_f64 v[68:69], v[14:15], s[0:1]
	v_fmac_f64_e32 v[18:19], s[2:3], v[0:1]
	v_fmac_f64_e32 v[58:59], 0.5, v[14:15]
	v_fmac_f64_e32 v[68:69], 0.5, v[2:3]
	v_add_f64 v[2:3], v[22:23], -v[18:19]
	v_add_f64 v[10:11], v[12:13], -v[58:59]
	v_add_f64 v[14:15], v[22:23], v[18:19]
	v_add_f64 v[18:19], v[12:13], v[58:59]
	v_lshl_add_u64 v[58:59], v[114:115], 4, s[4:5]
	global_load_dwordx4 v[128:131], v[58:59], off offset:1136
	global_load_dwordx4 v[152:155], v[58:59], off offset:1168
	;; [unrolled: 1-line block ×3, first 2 shown]
	v_mul_f64 v[66:67], v[0:1], -0.5
	v_add_f64 v[6:7], v[20:21], -v[26:27]
	v_fmac_f64_e32 v[66:67], s[0:1], v[8:9]
	v_add_f64 v[22:23], v[20:21], v[26:27]
	s_waitcnt vmcnt(6) lgkmcnt(1)
	v_mul_f64 v[26:27], v[120:121], v[146:147]
	s_waitcnt vmcnt(5) lgkmcnt(0)
	v_mul_f64 v[82:83], v[122:123], v[150:151]
	v_add_f64 v[0:1], v[16:17], -v[66:67]
	v_add_f64 v[8:9], v[30:31], -v[68:69]
	v_add_f64 v[12:13], v[16:17], v[66:67]
	v_add_f64 v[16:17], v[30:31], v[68:69]
	v_fma_f64 v[30:31], v[94:95], v[118:119], -v[26:27]
	v_mul_f64 v[26:27], v[124:125], v[150:151]
	v_fmac_f64_e32 v[82:83], v[90:91], v[124:125]
	global_load_dwordx4 v[124:127], v[58:59], off offset:1120
	global_load_dwordx4 v[156:159], v[58:59], off offset:1184
	ds_read_b64 v[74:75], v116
	v_mul_f64 v[78:79], v[118:119], v[146:147]
	v_fmac_f64_e32 v[78:79], v[94:95], v[120:121]
	v_add_f64 v[4:5], v[54:55], -v[64:65]
	v_add_f64 v[20:21], v[54:55], v[64:65]
	v_add_f64 v[64:65], v[78:79], v[82:83]
	v_fma_f64 v[54:55], v[90:91], v[122:123], -v[26:27]
	ds_read_b64 v[26:27], v213
	s_waitcnt lgkmcnt(1)
	v_fma_f64 v[86:87], -0.5, v[64:65], v[74:75]
	s_waitcnt vmcnt(6)
	v_mul_f64 v[64:65], v[106:107], v[80:81]
	v_fma_f64 v[94:95], v[62:63], v[104:105], -v[64:65]
	v_mul_f64 v[64:65], v[98:99], v[84:85]
	s_waitcnt vmcnt(5)
	v_mul_f64 v[58:59], v[110:111], v[100:101]
	v_mul_f64 v[84:85], v[96:97], v[84:85]
	v_add_f64 v[66:67], v[30:31], -v[54:55]
	v_fma_f64 v[102:103], v[76:77], v[96:97], -v[64:65]
	v_fma_f64 v[58:59], v[72:73], v[108:109], -v[58:59]
	v_fmac_f64_e32 v[84:85], v[76:77], v[98:99]
	v_mul_f64 v[76:77], v[108:109], v[100:101]
	v_mul_f64 v[80:81], v[104:105], v[80:81]
	v_fma_f64 v[90:91], s[0:1], v[66:67], v[86:87]
	v_add_f64 v[64:65], v[102:103], v[58:59]
	v_fmac_f64_e32 v[76:77], v[72:73], v[110:111]
	v_fmac_f64_e32 v[80:81], v[62:63], v[106:107]
	;; [unrolled: 1-line block ×3, first 2 shown]
	v_add_f64 v[66:67], v[78:79], v[74:75]
	v_fma_f64 v[116:117], -0.5, v[64:65], v[94:95]
	v_add_f64 v[68:69], v[84:85], -v[76:77]
	v_add_f64 v[62:63], v[84:85], v[76:77]
	v_add_f64 v[104:105], v[82:83], v[66:67]
	;; [unrolled: 1-line block ×3, first 2 shown]
	v_fma_f64 v[72:73], s[2:3], v[68:69], v[116:117]
	v_add_f64 v[96:97], v[102:103], -v[58:59]
	v_fma_f64 v[98:99], -0.5, v[62:63], v[80:81]
	v_fmac_f64_e32 v[116:117], s[0:1], v[68:69]
	v_add_f64 v[76:77], v[66:67], v[76:77]
	v_add_f64 v[66:67], v[30:31], v[54:55]
	;; [unrolled: 1-line block ×3, first 2 shown]
	v_fma_f64 v[62:63], s[0:1], v[96:97], v[98:99]
	v_fmac_f64_e32 v[98:99], s[2:3], v[96:97]
	v_mul_f64 v[96:97], v[116:117], s[2:3]
	v_fma_f64 v[80:81], -0.5, v[66:67], v[112:113]
	v_add_f64 v[66:67], v[78:79], -v[82:83]
	v_mul_f64 v[106:107], v[72:73], -0.5
	v_add_f64 v[30:31], v[30:31], v[54:55]
	v_add_f64 v[54:55], v[94:95], v[102:103]
	v_mul_f64 v[100:101], v[62:63], -0.5
	v_fmac_f64_e32 v[96:97], 0.5, v[98:99]
	v_fma_f64 v[84:85], s[2:3], v[66:67], v[80:81]
	v_fmac_f64_e32 v[106:107], s[0:1], v[62:63]
	v_add_f64 v[54:55], v[54:55], v[58:59]
	v_mul_i32_i24_e32 v114, 5, v207
	v_fmac_f64_e32 v[100:101], s[2:3], v[72:73]
	v_add_f64 v[68:69], v[86:87], -v[96:97]
	v_add_f64 v[74:75], v[104:105], -v[76:77]
	;; [unrolled: 1-line block ×4, first 2 shown]
	v_add_f64 v[82:83], v[86:87], v[96:97]
	v_add_f64 v[86:87], v[104:105], v[76:77]
	;; [unrolled: 1-line block ×4, first 2 shown]
	v_lshl_add_u64 v[54:55], v[114:115], 4, s[4:5]
	v_mul_f64 v[98:99], v[98:99], s[0:1]
	s_waitcnt vmcnt(4)
	v_mul_f64 v[30:31], v[130:131], v[144:145]
	global_load_dwordx4 v[108:111], v[54:55], off offset:1152
	global_load_dwordx4 v[120:123], v[54:55], off offset:1136
	v_fmac_f64_e32 v[80:81], s[0:1], v[66:67]
	v_fmac_f64_e32 v[98:99], 0.5, v[116:117]
	v_fma_f64 v[58:59], v[92:93], v[128:129], -v[30:31]
	s_waitcnt vmcnt(5)
	v_mul_f64 v[30:31], v[154:155], v[148:149]
	global_load_dwordx4 v[116:119], v[54:55], off offset:1168
	v_add_f64 v[66:67], v[80:81], -v[98:99]
	v_add_f64 v[80:81], v[80:81], v[98:99]
	v_fma_f64 v[96:97], v[88:89], v[152:153], -v[30:31]
	v_mul_f64 v[98:99], v[128:129], v[144:145]
	ds_read2_b64 v[112:115], v211 offset0:96 offset1:112
	ds_read_b64 v[30:31], v212
	ds_read2_b64 v[144:147], v142 offset1:16
	v_fmac_f64_e32 v[98:99], v[92:93], v[130:131]
	v_mul_f64 v[92:93], v[152:153], v[148:149]
	ds_read2_b64 v[148:151], v142 offset0:160 offset1:176
	v_fmac_f64_e32 v[92:93], v[88:89], v[154:155]
	global_load_dwordx4 v[128:131], v[54:55], off offset:1120
	global_load_dwordx4 v[152:155], v[54:55], off offset:1184
	v_add_f64 v[88:89], v[98:99], v[92:93]
	v_add_f64 v[64:65], v[90:91], -v[100:101]
	v_add_f64 v[78:79], v[90:91], v[100:101]
	s_waitcnt lgkmcnt(4)
	v_fma_f64 v[100:101], -0.5, v[88:89], v[26:27]
	s_waitcnt vmcnt(6) lgkmcnt(3)
	v_mul_f64 v[88:89], v[126:127], v[114:115]
	v_fma_f64 v[104:105], v[44:45], v[124:125], -v[88:89]
	s_waitcnt lgkmcnt(1)
	v_mul_f64 v[88:89], v[134:135], v[146:147]
	v_mul_f64 v[94:95], v[132:133], v[146:147]
	v_fma_f64 v[106:107], v[52:53], v[132:133], -v[88:89]
	s_waitcnt vmcnt(5) lgkmcnt(0)
	v_mul_f64 v[54:55], v[158:159], v[150:151]
	v_fmac_f64_e32 v[94:95], v[52:53], v[134:135]
	v_mul_f64 v[52:53], v[156:157], v[150:151]
	v_fma_f64 v[160:161], v[48:49], v[156:157], -v[54:55]
	v_fmac_f64_e32 v[52:53], v[48:49], v[158:159]
	v_mul_f64 v[114:115], v[124:125], v[114:115]
	v_add_f64 v[54:55], v[106:107], v[160:161]
	v_fmac_f64_e32 v[114:115], v[44:45], v[126:127]
	v_add_f64 v[44:45], v[94:95], v[52:53]
	v_fma_f64 v[88:89], -0.5, v[54:55], v[104:105]
	v_add_f64 v[48:49], v[94:95], -v[52:53]
	v_add_f64 v[134:135], v[106:107], -v[160:161]
	v_fma_f64 v[44:45], -0.5, v[44:45], v[114:115]
	v_fma_f64 v[132:133], s[2:3], v[48:49], v[88:89]
	v_fma_f64 v[124:125], s[0:1], v[134:135], v[44:45]
	v_fmac_f64_e32 v[88:89], s[0:1], v[48:49]
	v_add_f64 v[90:91], v[58:59], -v[96:97]
	v_mul_f64 v[126:127], v[124:125], -0.5
	v_fmac_f64_e32 v[44:45], s[2:3], v[134:135]
	v_mul_f64 v[48:49], v[88:89], s[2:3]
	v_fma_f64 v[102:103], s[0:1], v[90:91], v[100:101]
	v_fmac_f64_e32 v[126:127], s[2:3], v[132:133]
	v_fmac_f64_e32 v[100:101], s[2:3], v[90:91]
	v_fmac_f64_e32 v[48:49], 0.5, v[44:45]
	v_add_f64 v[26:27], v[98:99], v[26:27]
	v_add_f64 v[54:55], v[102:103], -v[126:127]
	v_add_f64 v[90:91], v[100:101], -v[48:49]
	v_add_f64 v[26:27], v[92:93], v[26:27]
	v_add_f64 v[92:93], v[98:99], -v[92:93]
	v_add_f64 v[98:99], v[102:103], v[126:127]
	v_add_f64 v[102:103], v[100:101], v[48:49]
	v_mul_u32_u24_e32 v48, 5, v202
	v_mul_f64 v[162:163], v[132:133], -0.5
	v_lshlrev_b32_e32 v168, 4, v48
	v_add_f64 v[94:95], v[114:115], v[94:95]
	v_fmac_f64_e32 v[162:163], s[0:1], v[124:125]
	global_load_dwordx4 v[124:127], v168, s[4:5] offset:1136
	v_add_f64 v[114:115], v[94:95], v[52:53]
	v_add_f64 v[52:53], v[58:59], v[96:97]
	global_load_dwordx4 v[132:135], v168, s[4:5] offset:1168
	global_load_dwordx4 v[164:167], v168, s[4:5] offset:1152
	v_fma_f64 v[146:147], -0.5, v[52:53], v[140:141]
	v_fma_f64 v[150:151], s[2:3], v[92:93], v[146:147]
	v_fmac_f64_e32 v[146:147], s[0:1], v[92:93]
	v_add_f64 v[58:59], v[140:141], v[58:59]
	v_add_f64 v[92:93], v[104:105], v[106:107]
	v_add_f64 v[52:53], v[150:151], -v[162:163]
	v_add_f64 v[58:59], v[58:59], v[96:97]
	v_add_f64 v[104:105], v[92:93], v[160:161]
	;; [unrolled: 1-line block ×3, first 2 shown]
	global_load_dwordx4 v[160:163], v168, s[4:5] offset:1120
	ds_read2_b64 v[156:159], v211 offset0:160 offset1:176
	global_load_dwordx4 v[168:171], v168, s[4:5] offset:1184
	ds_read2_b64 v[140:143], v142 offset0:64 offset1:80
	v_add_f64 v[94:95], v[26:27], -v[114:115]
	v_mul_f64 v[44:45], v[44:45], s[0:1]
	v_add_f64 v[92:93], v[58:59], -v[104:105]
	v_add_f64 v[106:107], v[26:27], v[114:115]
	v_add_f64 v[104:105], v[58:59], v[104:105]
	s_waitcnt vmcnt(8) lgkmcnt(1)
	v_mul_f64 v[26:27], v[122:123], v[158:159]
	v_mul_f64 v[58:59], v[120:121], v[158:159]
	v_fmac_f64_e32 v[44:45], 0.5, v[88:89]
	v_fma_f64 v[26:27], v[36:37], v[120:121], -v[26:27]
	v_fmac_f64_e32 v[58:59], v[36:37], v[122:123]
	s_waitcnt vmcnt(7) lgkmcnt(0)
	v_mul_f64 v[36:37], v[116:117], v[142:143]
	v_add_f64 v[88:89], v[146:147], -v[44:45]
	v_add_f64 v[100:101], v[146:147], v[44:45]
	v_mul_f64 v[44:45], v[118:119], v[142:143]
	v_fmac_f64_e32 v[36:37], v[40:41], v[118:119]
	v_fma_f64 v[48:49], v[40:41], v[116:117], -v[44:45]
	v_add_f64 v[40:41], v[58:59], v[36:37]
	v_fma_f64 v[114:115], -0.5, v[40:41], v[30:31]
	s_waitcnt vmcnt(6)
	v_mul_f64 v[40:41], v[130:131], v[112:113]
	v_fma_f64 v[118:119], v[42:43], v[128:129], -v[40:41]
	v_mul_f64 v[40:41], v[110:111], v[144:145]
	v_fma_f64 v[122:123], v[50:51], v[108:109], -v[40:41]
	s_waitcnt vmcnt(5)
	v_mul_f64 v[40:41], v[154:155], v[148:149]
	v_fma_f64 v[142:143], v[46:47], v[152:153], -v[40:41]
	v_add_f64 v[40:41], v[122:123], v[142:143]
	v_fma_f64 v[146:147], -0.5, v[40:41], v[118:119]
	v_mul_f64 v[40:41], v[108:109], v[144:145]
	v_fmac_f64_e32 v[40:41], v[50:51], v[110:111]
	v_mul_f64 v[50:51], v[152:153], v[148:149]
	v_fmac_f64_e32 v[50:51], v[46:47], v[154:155]
	;; [unrolled: 2-line block ×3, first 2 shown]
	v_add_f64 v[42:43], v[40:41], v[50:51]
	v_add_f64 v[46:47], v[40:41], -v[50:51]
	v_add_f64 v[110:111], v[122:123], -v[142:143]
	v_fma_f64 v[128:129], -0.5, v[42:43], v[112:113]
	v_add_f64 v[40:41], v[112:113], v[40:41]
	v_add_f64 v[44:45], v[26:27], -v[48:49]
	v_fma_f64 v[130:131], s[0:1], v[110:111], v[128:129]
	v_add_f64 v[30:31], v[58:59], v[30:31]
	v_add_f64 v[112:113], v[40:41], v[50:51]
	;; [unrolled: 1-line block ×4, first 2 shown]
	v_fma_f64 v[108:109], s[2:3], v[46:47], v[146:147]
	v_mul_f64 v[144:145], v[130:131], -0.5
	v_fmac_f64_e32 v[128:129], s[2:3], v[110:111]
	v_add_f64 v[30:31], v[36:37], v[30:31]
	v_fma_f64 v[150:151], -0.5, v[40:41], v[138:139]
	v_add_f64 v[36:37], v[58:59], -v[36:37]
	v_add_f64 v[26:27], v[26:27], v[48:49]
	v_add_f64 v[48:49], v[118:119], v[122:123]
	ds_read_b64 v[120:121], v210
	v_fma_f64 v[116:117], s[0:1], v[44:45], v[114:115]
	v_fmac_f64_e32 v[144:145], s[2:3], v[108:109]
	v_fmac_f64_e32 v[146:147], s[0:1], v[46:47]
	v_fma_f64 v[58:59], s[2:3], v[36:37], v[150:151]
	v_fmac_f64_e32 v[150:151], s[0:1], v[36:37]
	v_mul_f64 v[36:37], v[128:129], s[0:1]
	v_add_f64 v[122:123], v[48:49], v[142:143]
	v_add_f64 v[42:43], v[116:117], -v[144:145]
	v_fmac_f64_e32 v[36:37], 0.5, v[146:147]
	v_add_f64 v[48:49], v[26:27], -v[122:123]
	v_add_f64 v[110:111], v[116:117], v[144:145]
	v_add_f64 v[116:117], v[26:27], v[122:123]
	s_waitcnt vmcnt(4)
	v_mul_f64 v[26:27], v[156:157], v[126:127]
	v_mul_f64 v[122:123], v[34:35], v[126:127]
	v_fmac_f64_e32 v[114:115], s[2:3], v[44:45]
	v_add_f64 v[50:51], v[30:31], -v[112:113]
	v_mul_f64 v[108:109], v[108:109], -0.5
	v_add_f64 v[44:45], v[150:151], -v[36:37]
	v_add_f64 v[118:119], v[30:31], v[112:113]
	v_add_f64 v[112:113], v[150:151], v[36:37]
	v_fma_f64 v[36:37], v[34:35], v[124:125], -v[26:27]
	v_fmac_f64_e32 v[122:123], v[124:125], v[156:157]
	s_waitcnt vmcnt(3)
	v_mul_f64 v[124:125], v[132:133], v[140:141]
	v_fmac_f64_e32 v[108:109], s[0:1], v[130:131]
	v_mul_f64 v[26:27], v[134:135], v[140:141]
	v_fmac_f64_e32 v[124:125], v[38:39], v[134:135]
	v_add_f64 v[40:41], v[58:59], -v[108:109]
	v_add_f64 v[108:109], v[58:59], v[108:109]
	v_fma_f64 v[58:59], v[38:39], v[132:133], -v[26:27]
	v_add_f64 v[26:27], v[122:123], v[124:125]
	v_mul_f64 v[148:149], v[146:147], s[2:3]
	s_waitcnt lgkmcnt(0)
	v_fma_f64 v[126:127], -0.5, v[26:27], v[120:121]
	s_waitcnt vmcnt(1)
	v_mul_f64 v[26:27], v[56:57], v[162:163]
	v_fmac_f64_e32 v[148:149], 0.5, v[128:129]
	v_fma_f64 v[128:129], v[24:25], v[160:161], -v[26:27]
	v_mul_f64 v[26:27], v[166:167], v[60:61]
	v_fma_f64 v[130:131], v[28:29], v[164:165], -v[26:27]
	s_waitcnt vmcnt(0)
	v_mul_f64 v[26:27], v[170:171], v[70:71]
	v_mul_f64 v[34:35], v[164:165], v[60:61]
	v_fma_f64 v[132:133], v[32:33], v[168:169], -v[26:27]
	v_fmac_f64_e32 v[34:35], v[28:29], v[166:167]
	v_mul_f64 v[28:29], v[168:169], v[70:71]
	v_add_f64 v[26:27], v[130:131], v[132:133]
	v_fmac_f64_e32 v[28:29], v[32:33], v[170:171]
	v_mul_f64 v[24:25], v[24:25], v[162:163]
	v_fma_f64 v[134:135], -0.5, v[26:27], v[128:129]
	v_fmac_f64_e32 v[24:25], v[160:161], v[56:57]
	v_add_f64 v[26:27], v[34:35], v[28:29]
	v_add_f64 v[70:71], v[130:131], -v[132:133]
	v_fma_f64 v[56:57], -0.5, v[26:27], v[24:25]
	v_add_f64 v[32:33], v[34:35], -v[28:29]
	v_fma_f64 v[138:139], s[0:1], v[70:71], v[56:57]
	v_add_f64 v[24:25], v[24:25], v[34:35]
	v_fma_f64 v[60:61], s[2:3], v[32:33], v[134:135]
	v_mul_f64 v[140:141], v[138:139], -0.5
	v_add_f64 v[142:143], v[24:25], v[28:29]
	v_add_f64 v[24:25], v[36:37], v[58:59]
	v_fmac_f64_e32 v[140:141], s[2:3], v[60:61]
	v_fmac_f64_e32 v[134:135], s[0:1], v[32:33]
	v_add_f64 v[32:33], v[122:123], v[120:121]
	v_fma_f64 v[144:145], -0.5, v[24:25], v[136:137]
	v_add_f64 v[28:29], v[122:123], -v[124:125]
	v_mul_f64 v[60:61], v[60:61], -0.5
	v_add_f64 v[30:31], v[36:37], -v[58:59]
	v_fmac_f64_e32 v[56:57], s[2:3], v[70:71]
	v_mul_f64 v[70:71], v[134:135], s[2:3]
	v_add_f64 v[120:121], v[124:125], v[32:33]
	v_fma_f64 v[124:125], s[2:3], v[28:29], v[144:145]
	v_fmac_f64_e32 v[60:61], s[0:1], v[138:139]
	v_fma_f64 v[38:39], s[0:1], v[30:31], v[126:127]
	v_fmac_f64_e32 v[126:127], s[2:3], v[30:31]
	v_fmac_f64_e32 v[70:71], 0.5, v[56:57]
	v_add_f64 v[24:25], v[124:125], -v[60:61]
	v_fmac_f64_e32 v[144:145], s[0:1], v[28:29]
	v_mul_f64 v[56:57], v[56:57], s[0:1]
	v_add_f64 v[32:33], v[136:137], v[36:37]
	v_add_f64 v[36:37], v[124:125], v[60:61]
	v_mad_u64_u32 v[60:61], s[0:1], s8, v202, 0
	v_add_f64 v[30:31], v[126:127], -v[70:71]
	v_fmac_f64_e32 v[56:57], 0.5, v[134:135]
	v_add_f64 v[134:135], v[32:33], v[58:59]
	v_add_f64 v[58:59], v[126:127], v[70:71]
	v_mov_b32_e32 v70, v61
	v_add_f64 v[32:33], v[128:129], v[130:131]
	v_mad_u64_u32 v[70:71], s[0:1], s9, v202, v[70:71]
	v_add_f64 v[128:129], v[32:33], v[132:133]
	v_mov_b32_e32 v61, v70
	v_add_f64 v[34:35], v[120:121], -v[142:143]
	v_add_f64 v[122:123], v[120:121], v[142:143]
	v_add_f64 v[120:121], v[134:135], v[128:129]
	v_lshl_add_u64 v[60:61], v[60:61], 4, v[174:175]
	v_or_b32_e32 v71, 0x50, v202
	global_store_dwordx4 v[60:61], v[120:123], off
	v_mad_u64_u32 v[60:61], s[0:1], s8, v71, 0
	v_mov_b32_e32 v70, v61
	v_mad_u64_u32 v[70:71], s[0:1], s9, v71, v[70:71]
	v_mov_b32_e32 v61, v70
	v_add_f64 v[28:29], v[144:145], -v[56:57]
	v_add_f64 v[56:57], v[144:145], v[56:57]
	v_lshl_add_u64 v[60:61], v[60:61], 4, v[174:175]
	global_store_dwordx4 v[60:61], v[56:59], off
	v_add_f64 v[26:27], v[38:39], -v[140:141]
	v_add_f64 v[38:39], v[38:39], v[140:141]
	v_or_b32_e32 v59, 0xa0, v202
	v_mad_u64_u32 v[56:57], s[0:1], s8, v59, 0
	v_mov_b32_e32 v58, v57
	v_mad_u64_u32 v[58:59], s[0:1], s9, v59, v[58:59]
	v_mov_b32_e32 v57, v58
	v_lshl_add_u64 v[56:57], v[56:57], 4, v[174:175]
	global_store_dwordx4 v[56:57], v[36:39], off
	v_add_f64 v[32:33], v[134:135], -v[128:129]
	v_add_f64 v[46:47], v[114:115], -v[148:149]
	v_or_b32_e32 v39, 0xf0, v202
	v_mad_u64_u32 v[36:37], s[0:1], s8, v39, 0
	v_mov_b32_e32 v38, v37
	v_mad_u64_u32 v[38:39], s[0:1], s9, v39, v[38:39]
	v_mov_b32_e32 v37, v38
	v_lshl_add_u64 v[36:37], v[36:37], 4, v[174:175]
	global_store_dwordx4 v[36:37], v[32:35], off
	v_add_f64 v[114:115], v[114:115], v[148:149]
	s_nop 0
	v_or_b32_e32 v35, 0x140, v202
	v_mad_u64_u32 v[32:33], s[0:1], s8, v35, 0
	v_mov_b32_e32 v34, v33
	v_mad_u64_u32 v[34:35], s[0:1], s9, v35, v[34:35]
	v_mov_b32_e32 v33, v34
	v_lshl_add_u64 v[32:33], v[32:33], 4, v[174:175]
	global_store_dwordx4 v[32:33], v[28:31], off
	s_nop 1
	v_or_b32_e32 v31, 0x190, v202
	v_mad_u64_u32 v[28:29], s[0:1], s8, v31, 0
	v_mov_b32_e32 v30, v29
	v_mad_u64_u32 v[30:31], s[0:1], s9, v31, v[30:31]
	v_mov_b32_e32 v29, v30
	v_lshl_add_u64 v[28:29], v[28:29], 4, v[174:175]
	global_store_dwordx4 v[28:29], v[24:27], off
	s_nop 1
	v_mad_u64_u32 v[24:25], s[0:1], s8, v206, 0
	v_mov_b32_e32 v26, v25
	v_mad_u64_u32 v[26:27], s[0:1], s9, v206, v[26:27]
	v_mov_b32_e32 v25, v26
	v_lshl_add_u64 v[24:25], v[24:25], 4, v[174:175]
	v_or_b32_e32 v27, 0x60, v202
	global_store_dwordx4 v[24:25], v[116:119], off
	v_mad_u64_u32 v[24:25], s[0:1], s8, v27, 0
	v_mov_b32_e32 v26, v25
	v_mad_u64_u32 v[26:27], s[0:1], s9, v27, v[26:27]
	v_mov_b32_e32 v25, v26
	v_lshl_add_u64 v[24:25], v[24:25], 4, v[174:175]
	v_or_b32_e32 v27, 0xb0, v202
	global_store_dwordx4 v[24:25], v[112:115], off
	v_mad_u64_u32 v[24:25], s[0:1], s8, v27, 0
	v_mov_b32_e32 v26, v25
	v_mad_u64_u32 v[26:27], s[0:1], s9, v27, v[26:27]
	v_mov_b32_e32 v25, v26
	v_lshl_add_u64 v[24:25], v[24:25], 4, v[174:175]
	v_or_b32_e32 v27, 0x100, v202
	global_store_dwordx4 v[24:25], v[108:111], off
	v_mad_u64_u32 v[24:25], s[0:1], s8, v27, 0
	v_mov_b32_e32 v26, v25
	v_mad_u64_u32 v[26:27], s[0:1], s9, v27, v[26:27]
	v_mov_b32_e32 v25, v26
	v_lshl_add_u64 v[24:25], v[24:25], 4, v[174:175]
	v_or_b32_e32 v27, 0x150, v202
	global_store_dwordx4 v[24:25], v[48:51], off
	v_mad_u64_u32 v[24:25], s[0:1], s8, v27, 0
	v_mov_b32_e32 v26, v25
	v_mad_u64_u32 v[26:27], s[0:1], s9, v27, v[26:27]
	v_mov_b32_e32 v25, v26
	v_lshl_add_u64 v[24:25], v[24:25], 4, v[174:175]
	v_or_b32_e32 v27, 0x1a0, v202
	global_store_dwordx4 v[24:25], v[44:47], off
	v_mad_u64_u32 v[24:25], s[0:1], s8, v27, 0
	v_mov_b32_e32 v26, v25
	v_mad_u64_u32 v[26:27], s[0:1], s9, v27, v[26:27]
	v_mov_b32_e32 v25, v26
	v_lshl_add_u64 v[24:25], v[24:25], 4, v[174:175]
	global_store_dwordx4 v[24:25], v[40:43], off
	v_mad_u64_u32 v[24:25], s[0:1], s8, v205, 0
	v_mov_b32_e32 v26, v25
	v_mad_u64_u32 v[26:27], s[0:1], s9, v205, v[26:27]
	v_mov_b32_e32 v25, v26
	v_lshl_add_u64 v[24:25], v[24:25], 4, v[174:175]
	v_or_b32_e32 v27, 0x70, v202
	global_store_dwordx4 v[24:25], v[104:107], off
	v_mad_u64_u32 v[24:25], s[0:1], s8, v27, 0
	v_mov_b32_e32 v26, v25
	v_mad_u64_u32 v[26:27], s[0:1], s9, v27, v[26:27]
	v_mov_b32_e32 v25, v26
	v_lshl_add_u64 v[24:25], v[24:25], 4, v[174:175]
	v_or_b32_e32 v27, 0xc0, v202
	global_store_dwordx4 v[24:25], v[100:103], off
	v_mad_u64_u32 v[24:25], s[0:1], s8, v27, 0
	v_mov_b32_e32 v26, v25
	v_mad_u64_u32 v[26:27], s[0:1], s9, v27, v[26:27]
	v_mov_b32_e32 v25, v26
	v_lshl_add_u64 v[24:25], v[24:25], 4, v[174:175]
	v_or_b32_e32 v27, 0x110, v202
	global_store_dwordx4 v[24:25], v[96:99], off
	v_mad_u64_u32 v[24:25], s[0:1], s8, v27, 0
	v_mov_b32_e32 v26, v25
	v_mad_u64_u32 v[26:27], s[0:1], s9, v27, v[26:27]
	v_mov_b32_e32 v25, v26
	v_lshl_add_u64 v[24:25], v[24:25], 4, v[174:175]
	v_or_b32_e32 v27, 0x160, v202
	global_store_dwordx4 v[24:25], v[92:95], off
	v_mad_u64_u32 v[24:25], s[0:1], s8, v27, 0
	v_mov_b32_e32 v26, v25
	v_mad_u64_u32 v[26:27], s[0:1], s9, v27, v[26:27]
	v_mov_b32_e32 v25, v26
	v_lshl_add_u64 v[24:25], v[24:25], 4, v[174:175]
	v_or_b32_e32 v27, 0x1b0, v202
	global_store_dwordx4 v[24:25], v[88:91], off
	v_mad_u64_u32 v[24:25], s[0:1], s8, v27, 0
	v_mov_b32_e32 v26, v25
	v_mad_u64_u32 v[26:27], s[0:1], s9, v27, v[26:27]
	v_mov_b32_e32 v25, v26
	v_lshl_add_u64 v[24:25], v[24:25], 4, v[174:175]
	global_store_dwordx4 v[24:25], v[52:55], off
	;; [unrolled: 41-line block ×3, first 2 shown]
	v_mad_u64_u32 v[24:25], s[0:1], s8, v204, 0
	v_mov_b32_e32 v26, v25
	v_mad_u64_u32 v[26:27], s[0:1], s9, v204, v[26:27]
	v_mov_b32_e32 v25, v26
	v_lshl_add_u64 v[24:25], v[24:25], 4, v[174:175]
	global_store_dwordx4 v[24:25], v[20:23], off
	s_nop 1
	v_or_b32_e32 v23, 0x90, v202
	v_mad_u64_u32 v[20:21], s[0:1], s8, v23, 0
	v_mov_b32_e32 v22, v21
	v_mad_u64_u32 v[22:23], s[0:1], s9, v23, v[22:23]
	v_mov_b32_e32 v21, v22
	v_lshl_add_u64 v[20:21], v[20:21], 4, v[174:175]
	global_store_dwordx4 v[20:21], v[16:19], off
	s_nop 1
	v_or_b32_e32 v19, 0xe0, v202
	;; [unrolled: 8-line block ×4, first 2 shown]
	v_mad_u64_u32 v[4:5], s[0:1], s8, v7, 0
	v_mov_b32_e32 v6, v5
	v_mad_u64_u32 v[6:7], s[0:1], s9, v7, v[6:7]
	v_mov_b32_e32 v5, v6
	v_lshl_add_u64 v[4:5], v[4:5], 4, v[174:175]
	v_or_b32_e32 v7, 0x1d0, v202
	global_store_dwordx4 v[4:5], v[8:11], off
	v_mad_u64_u32 v[4:5], s[0:1], s8, v7, 0
	v_mov_b32_e32 v6, v5
	v_mad_u64_u32 v[6:7], s[0:1], s9, v7, v[6:7]
	v_mov_b32_e32 v5, v6
	v_lshl_add_u64 v[4:5], v[4:5], 4, v[174:175]
	global_store_dwordx4 v[4:5], v[0:3], off
.LBB0_23:
	s_endpgm
	.section	.rodata,"a",@progbits
	.p2align	6, 0x0
	.amdhsa_kernel fft_rtc_fwd_len480_factors_10_8_6_wgs_64_tpt_16_halfLds_dp_ip_CI_sbrr_dirReg
		.amdhsa_group_segment_fixed_size 0
		.amdhsa_private_segment_fixed_size 0
		.amdhsa_kernarg_size 88
		.amdhsa_user_sgpr_count 2
		.amdhsa_user_sgpr_dispatch_ptr 0
		.amdhsa_user_sgpr_queue_ptr 0
		.amdhsa_user_sgpr_kernarg_segment_ptr 1
		.amdhsa_user_sgpr_dispatch_id 0
		.amdhsa_user_sgpr_kernarg_preload_length 0
		.amdhsa_user_sgpr_kernarg_preload_offset 0
		.amdhsa_user_sgpr_private_segment_size 0
		.amdhsa_uses_dynamic_stack 0
		.amdhsa_enable_private_segment 0
		.amdhsa_system_sgpr_workgroup_id_x 1
		.amdhsa_system_sgpr_workgroup_id_y 0
		.amdhsa_system_sgpr_workgroup_id_z 0
		.amdhsa_system_sgpr_workgroup_info 0
		.amdhsa_system_vgpr_workitem_id 0
		.amdhsa_next_free_vgpr 224
		.amdhsa_next_free_sgpr 24
		.amdhsa_accum_offset 224
		.amdhsa_reserve_vcc 1
		.amdhsa_float_round_mode_32 0
		.amdhsa_float_round_mode_16_64 0
		.amdhsa_float_denorm_mode_32 3
		.amdhsa_float_denorm_mode_16_64 3
		.amdhsa_dx10_clamp 1
		.amdhsa_ieee_mode 1
		.amdhsa_fp16_overflow 0
		.amdhsa_tg_split 0
		.amdhsa_exception_fp_ieee_invalid_op 0
		.amdhsa_exception_fp_denorm_src 0
		.amdhsa_exception_fp_ieee_div_zero 0
		.amdhsa_exception_fp_ieee_overflow 0
		.amdhsa_exception_fp_ieee_underflow 0
		.amdhsa_exception_fp_ieee_inexact 0
		.amdhsa_exception_int_div_zero 0
	.end_amdhsa_kernel
	.text
.Lfunc_end0:
	.size	fft_rtc_fwd_len480_factors_10_8_6_wgs_64_tpt_16_halfLds_dp_ip_CI_sbrr_dirReg, .Lfunc_end0-fft_rtc_fwd_len480_factors_10_8_6_wgs_64_tpt_16_halfLds_dp_ip_CI_sbrr_dirReg
                                        ; -- End function
	.section	.AMDGPU.csdata,"",@progbits
; Kernel info:
; codeLenInByte = 14648
; NumSgprs: 30
; NumVgprs: 224
; NumAgprs: 0
; TotalNumVgprs: 224
; ScratchSize: 0
; MemoryBound: 1
; FloatMode: 240
; IeeeMode: 1
; LDSByteSize: 0 bytes/workgroup (compile time only)
; SGPRBlocks: 3
; VGPRBlocks: 27
; NumSGPRsForWavesPerEU: 30
; NumVGPRsForWavesPerEU: 224
; AccumOffset: 224
; Occupancy: 2
; WaveLimiterHint : 1
; COMPUTE_PGM_RSRC2:SCRATCH_EN: 0
; COMPUTE_PGM_RSRC2:USER_SGPR: 2
; COMPUTE_PGM_RSRC2:TRAP_HANDLER: 0
; COMPUTE_PGM_RSRC2:TGID_X_EN: 1
; COMPUTE_PGM_RSRC2:TGID_Y_EN: 0
; COMPUTE_PGM_RSRC2:TGID_Z_EN: 0
; COMPUTE_PGM_RSRC2:TIDIG_COMP_CNT: 0
; COMPUTE_PGM_RSRC3_GFX90A:ACCUM_OFFSET: 55
; COMPUTE_PGM_RSRC3_GFX90A:TG_SPLIT: 0
	.text
	.p2alignl 6, 3212836864
	.fill 256, 4, 3212836864
	.type	__hip_cuid_95c836d0a2aa81b6,@object ; @__hip_cuid_95c836d0a2aa81b6
	.section	.bss,"aw",@nobits
	.globl	__hip_cuid_95c836d0a2aa81b6
__hip_cuid_95c836d0a2aa81b6:
	.byte	0                               ; 0x0
	.size	__hip_cuid_95c836d0a2aa81b6, 1

	.ident	"AMD clang version 19.0.0git (https://github.com/RadeonOpenCompute/llvm-project roc-6.4.0 25133 c7fe45cf4b819c5991fe208aaa96edf142730f1d)"
	.section	".note.GNU-stack","",@progbits
	.addrsig
	.addrsig_sym __hip_cuid_95c836d0a2aa81b6
	.amdgpu_metadata
---
amdhsa.kernels:
  - .agpr_count:     0
    .args:
      - .actual_access:  read_only
        .address_space:  global
        .offset:         0
        .size:           8
        .value_kind:     global_buffer
      - .offset:         8
        .size:           8
        .value_kind:     by_value
      - .actual_access:  read_only
        .address_space:  global
        .offset:         16
        .size:           8
        .value_kind:     global_buffer
      - .actual_access:  read_only
        .address_space:  global
        .offset:         24
        .size:           8
        .value_kind:     global_buffer
      - .offset:         32
        .size:           8
        .value_kind:     by_value
      - .actual_access:  read_only
        .address_space:  global
        .offset:         40
        .size:           8
        .value_kind:     global_buffer
      - .actual_access:  read_only
        .address_space:  global
        .offset:         48
        .size:           8
        .value_kind:     global_buffer
      - .offset:         56
        .size:           4
        .value_kind:     by_value
      - .actual_access:  read_only
        .address_space:  global
        .offset:         64
        .size:           8
        .value_kind:     global_buffer
      - .actual_access:  read_only
        .address_space:  global
        .offset:         72
        .size:           8
        .value_kind:     global_buffer
      - .address_space:  global
        .offset:         80
        .size:           8
        .value_kind:     global_buffer
    .group_segment_fixed_size: 0
    .kernarg_segment_align: 8
    .kernarg_segment_size: 88
    .language:       OpenCL C
    .language_version:
      - 2
      - 0
    .max_flat_workgroup_size: 64
    .name:           fft_rtc_fwd_len480_factors_10_8_6_wgs_64_tpt_16_halfLds_dp_ip_CI_sbrr_dirReg
    .private_segment_fixed_size: 0
    .sgpr_count:     30
    .sgpr_spill_count: 0
    .symbol:         fft_rtc_fwd_len480_factors_10_8_6_wgs_64_tpt_16_halfLds_dp_ip_CI_sbrr_dirReg.kd
    .uniform_work_group_size: 1
    .uses_dynamic_stack: false
    .vgpr_count:     224
    .vgpr_spill_count: 0
    .wavefront_size: 64
amdhsa.target:   amdgcn-amd-amdhsa--gfx950
amdhsa.version:
  - 1
  - 2
...

	.end_amdgpu_metadata
